;; amdgpu-corpus repo=ROCm/composable_kernel kind=compiled arch=gfx1201 opt=O3
	.amdgcn_target "amdgcn-amd-amdhsa--gfx1201"
	.amdhsa_code_object_version 6
	.section	.text._ZN2ckL12flush_icacheEv,"axG",@progbits,_ZN2ckL12flush_icacheEv,comdat
	.globl	_ZN2ckL12flush_icacheEv         ; -- Begin function _ZN2ckL12flush_icacheEv
	.p2align	8
	.type	_ZN2ckL12flush_icacheEv,@function
_ZN2ckL12flush_icacheEv:                ; @_ZN2ckL12flush_icacheEv
; %bb.0:
	;;#ASMSTART
	s_icache_inv 
	s_nop 0 
	s_nop 0 
	;; [unrolled: 1-line block ×16, first 2 shown]
	
	;;#ASMEND
	s_endpgm
	.section	.rodata,"a",@progbits
	.p2align	6, 0x0
	.amdhsa_kernel _ZN2ckL12flush_icacheEv
		.amdhsa_group_segment_fixed_size 0
		.amdhsa_private_segment_fixed_size 0
		.amdhsa_kernarg_size 0
		.amdhsa_user_sgpr_count 0
		.amdhsa_user_sgpr_dispatch_ptr 0
		.amdhsa_user_sgpr_queue_ptr 0
		.amdhsa_user_sgpr_kernarg_segment_ptr 0
		.amdhsa_user_sgpr_dispatch_id 0
		.amdhsa_user_sgpr_private_segment_size 0
		.amdhsa_wavefront_size32 1
		.amdhsa_uses_dynamic_stack 0
		.amdhsa_enable_private_segment 0
		.amdhsa_system_sgpr_workgroup_id_x 1
		.amdhsa_system_sgpr_workgroup_id_y 0
		.amdhsa_system_sgpr_workgroup_id_z 0
		.amdhsa_system_sgpr_workgroup_info 0
		.amdhsa_system_vgpr_workitem_id 0
		.amdhsa_next_free_vgpr 1
		.amdhsa_next_free_sgpr 1
		.amdhsa_reserve_vcc 0
		.amdhsa_float_round_mode_32 0
		.amdhsa_float_round_mode_16_64 0
		.amdhsa_float_denorm_mode_32 3
		.amdhsa_float_denorm_mode_16_64 3
		.amdhsa_fp16_overflow 0
		.amdhsa_workgroup_processor_mode 1
		.amdhsa_memory_ordered 1
		.amdhsa_forward_progress 1
		.amdhsa_inst_pref_size 1
		.amdhsa_round_robin_scheduling 0
		.amdhsa_exception_fp_ieee_invalid_op 0
		.amdhsa_exception_fp_denorm_src 0
		.amdhsa_exception_fp_ieee_div_zero 0
		.amdhsa_exception_fp_ieee_overflow 0
		.amdhsa_exception_fp_ieee_underflow 0
		.amdhsa_exception_fp_ieee_inexact 0
		.amdhsa_exception_int_div_zero 0
	.end_amdhsa_kernel
	.section	.text._ZN2ckL12flush_icacheEv,"axG",@progbits,_ZN2ckL12flush_icacheEv,comdat
.Lfunc_end0:
	.size	_ZN2ckL12flush_icacheEv, .Lfunc_end0-_ZN2ckL12flush_icacheEv
                                        ; -- End function
	.set _ZN2ckL12flush_icacheEv.num_vgpr, 0
	.set _ZN2ckL12flush_icacheEv.num_agpr, 0
	.set _ZN2ckL12flush_icacheEv.numbered_sgpr, 0
	.set _ZN2ckL12flush_icacheEv.num_named_barrier, 0
	.set _ZN2ckL12flush_icacheEv.private_seg_size, 0
	.set _ZN2ckL12flush_icacheEv.uses_vcc, 0
	.set _ZN2ckL12flush_icacheEv.uses_flat_scratch, 0
	.set _ZN2ckL12flush_icacheEv.has_dyn_sized_stack, 0
	.set _ZN2ckL12flush_icacheEv.has_recursion, 0
	.set _ZN2ckL12flush_icacheEv.has_indirect_call, 0
	.section	.AMDGPU.csdata,"",@progbits
; Kernel info:
; codeLenInByte = 4
; TotalNumSgprs: 0
; NumVgprs: 0
; ScratchSize: 0
; MemoryBound: 0
; FloatMode: 240
; IeeeMode: 1
; LDSByteSize: 0 bytes/workgroup (compile time only)
; SGPRBlocks: 0
; VGPRBlocks: 0
; NumSGPRsForWavesPerEU: 1
; NumVGPRsForWavesPerEU: 1
; Occupancy: 16
; WaveLimiterHint : 0
; COMPUTE_PGM_RSRC2:SCRATCH_EN: 0
; COMPUTE_PGM_RSRC2:USER_SGPR: 0
; COMPUTE_PGM_RSRC2:TRAP_HANDLER: 0
; COMPUTE_PGM_RSRC2:TGID_X_EN: 1
; COMPUTE_PGM_RSRC2:TGID_Y_EN: 0
; COMPUTE_PGM_RSRC2:TGID_Z_EN: 0
; COMPUTE_PGM_RSRC2:TIDIG_COMP_CNT: 0
	.section	.text._ZN2ck27kernel_gemm_xdl_cshuffle_v1INS_43GridwiseGemm_k0mk1_k0nk1_mn_xdl_cshuffle_v1INS_13tensor_layout4gemm8RowMajorENS3_11ColumnMajorES4_aaiaaNS_16tensor_operation12element_wise11PassThroughES8_S8_LNS6_6device18GemmSpecializationE0ELNS_25InMemoryDataOperationEnumE0ELi1ELi256ELi256ELi128ELi64ELi16ELi16ELi16ELi16ELi8ELi4ENS_8SequenceIJLi4ELi64ELi1EEEENSC_IJLi1ELi0ELi2EEEESE_Li2ELi16ELi16ELb0ELi1ESD_SE_SE_Li2ELi8ELi8ELb0ELi1ELi1ELi1ENSC_IJLi1ELi32ELi1ELi8EEEELi4ELNS_13LoopSchedulerE0ELNS_15PipelineVersionE0EaaEELb1EEEvNT_8ArgumentE,"axG",@progbits,_ZN2ck27kernel_gemm_xdl_cshuffle_v1INS_43GridwiseGemm_k0mk1_k0nk1_mn_xdl_cshuffle_v1INS_13tensor_layout4gemm8RowMajorENS3_11ColumnMajorES4_aaiaaNS_16tensor_operation12element_wise11PassThroughES8_S8_LNS6_6device18GemmSpecializationE0ELNS_25InMemoryDataOperationEnumE0ELi1ELi256ELi256ELi128ELi64ELi16ELi16ELi16ELi16ELi8ELi4ENS_8SequenceIJLi4ELi64ELi1EEEENSC_IJLi1ELi0ELi2EEEESE_Li2ELi16ELi16ELb0ELi1ESD_SE_SE_Li2ELi8ELi8ELb0ELi1ELi1ELi1ENSC_IJLi1ELi32ELi1ELi8EEEELi4ELNS_13LoopSchedulerE0ELNS_15PipelineVersionE0EaaEELb1EEEvNT_8ArgumentE,comdat
	.protected	_ZN2ck27kernel_gemm_xdl_cshuffle_v1INS_43GridwiseGemm_k0mk1_k0nk1_mn_xdl_cshuffle_v1INS_13tensor_layout4gemm8RowMajorENS3_11ColumnMajorES4_aaiaaNS_16tensor_operation12element_wise11PassThroughES8_S8_LNS6_6device18GemmSpecializationE0ELNS_25InMemoryDataOperationEnumE0ELi1ELi256ELi256ELi128ELi64ELi16ELi16ELi16ELi16ELi8ELi4ENS_8SequenceIJLi4ELi64ELi1EEEENSC_IJLi1ELi0ELi2EEEESE_Li2ELi16ELi16ELb0ELi1ESD_SE_SE_Li2ELi8ELi8ELb0ELi1ELi1ELi1ENSC_IJLi1ELi32ELi1ELi8EEEELi4ELNS_13LoopSchedulerE0ELNS_15PipelineVersionE0EaaEELb1EEEvNT_8ArgumentE ; -- Begin function _ZN2ck27kernel_gemm_xdl_cshuffle_v1INS_43GridwiseGemm_k0mk1_k0nk1_mn_xdl_cshuffle_v1INS_13tensor_layout4gemm8RowMajorENS3_11ColumnMajorES4_aaiaaNS_16tensor_operation12element_wise11PassThroughES8_S8_LNS6_6device18GemmSpecializationE0ELNS_25InMemoryDataOperationEnumE0ELi1ELi256ELi256ELi128ELi64ELi16ELi16ELi16ELi16ELi8ELi4ENS_8SequenceIJLi4ELi64ELi1EEEENSC_IJLi1ELi0ELi2EEEESE_Li2ELi16ELi16ELb0ELi1ESD_SE_SE_Li2ELi8ELi8ELb0ELi1ELi1ELi1ENSC_IJLi1ELi32ELi1ELi8EEEELi4ELNS_13LoopSchedulerE0ELNS_15PipelineVersionE0EaaEELb1EEEvNT_8ArgumentE
	.globl	_ZN2ck27kernel_gemm_xdl_cshuffle_v1INS_43GridwiseGemm_k0mk1_k0nk1_mn_xdl_cshuffle_v1INS_13tensor_layout4gemm8RowMajorENS3_11ColumnMajorES4_aaiaaNS_16tensor_operation12element_wise11PassThroughES8_S8_LNS6_6device18GemmSpecializationE0ELNS_25InMemoryDataOperationEnumE0ELi1ELi256ELi256ELi128ELi64ELi16ELi16ELi16ELi16ELi8ELi4ENS_8SequenceIJLi4ELi64ELi1EEEENSC_IJLi1ELi0ELi2EEEESE_Li2ELi16ELi16ELb0ELi1ESD_SE_SE_Li2ELi8ELi8ELb0ELi1ELi1ELi1ENSC_IJLi1ELi32ELi1ELi8EEEELi4ELNS_13LoopSchedulerE0ELNS_15PipelineVersionE0EaaEELb1EEEvNT_8ArgumentE
	.p2align	8
	.type	_ZN2ck27kernel_gemm_xdl_cshuffle_v1INS_43GridwiseGemm_k0mk1_k0nk1_mn_xdl_cshuffle_v1INS_13tensor_layout4gemm8RowMajorENS3_11ColumnMajorES4_aaiaaNS_16tensor_operation12element_wise11PassThroughES8_S8_LNS6_6device18GemmSpecializationE0ELNS_25InMemoryDataOperationEnumE0ELi1ELi256ELi256ELi128ELi64ELi16ELi16ELi16ELi16ELi8ELi4ENS_8SequenceIJLi4ELi64ELi1EEEENSC_IJLi1ELi0ELi2EEEESE_Li2ELi16ELi16ELb0ELi1ESD_SE_SE_Li2ELi8ELi8ELb0ELi1ELi1ELi1ENSC_IJLi1ELi32ELi1ELi8EEEELi4ELNS_13LoopSchedulerE0ELNS_15PipelineVersionE0EaaEELb1EEEvNT_8ArgumentE,@function
_ZN2ck27kernel_gemm_xdl_cshuffle_v1INS_43GridwiseGemm_k0mk1_k0nk1_mn_xdl_cshuffle_v1INS_13tensor_layout4gemm8RowMajorENS3_11ColumnMajorES4_aaiaaNS_16tensor_operation12element_wise11PassThroughES8_S8_LNS6_6device18GemmSpecializationE0ELNS_25InMemoryDataOperationEnumE0ELi1ELi256ELi256ELi128ELi64ELi16ELi16ELi16ELi16ELi8ELi4ENS_8SequenceIJLi4ELi64ELi1EEEENSC_IJLi1ELi0ELi2EEEESE_Li2ELi16ELi16ELb0ELi1ESD_SE_SE_Li2ELi8ELi8ELb0ELi1ELi1ELi1ENSC_IJLi1ELi32ELi1ELi8EEEELi4ELNS_13LoopSchedulerE0ELNS_15PipelineVersionE0EaaEELb1EEEvNT_8ArgumentE: ; @_ZN2ck27kernel_gemm_xdl_cshuffle_v1INS_43GridwiseGemm_k0mk1_k0nk1_mn_xdl_cshuffle_v1INS_13tensor_layout4gemm8RowMajorENS3_11ColumnMajorES4_aaiaaNS_16tensor_operation12element_wise11PassThroughES8_S8_LNS6_6device18GemmSpecializationE0ELNS_25InMemoryDataOperationEnumE0ELi1ELi256ELi256ELi128ELi64ELi16ELi16ELi16ELi16ELi8ELi4ENS_8SequenceIJLi4ELi64ELi1EEEENSC_IJLi1ELi0ELi2EEEESE_Li2ELi16ELi16ELb0ELi1ESD_SE_SE_Li2ELi8ELi8ELb0ELi1ELi1ELi1ENSC_IJLi1ELi32ELi1ELi8EEEELi4ELNS_13LoopSchedulerE0ELNS_15PipelineVersionE0EaaEELb1EEEvNT_8ArgumentE
; %bb.0:
	s_endpgm
	.section	.rodata,"a",@progbits
	.p2align	6, 0x0
	.amdhsa_kernel _ZN2ck27kernel_gemm_xdl_cshuffle_v1INS_43GridwiseGemm_k0mk1_k0nk1_mn_xdl_cshuffle_v1INS_13tensor_layout4gemm8RowMajorENS3_11ColumnMajorES4_aaiaaNS_16tensor_operation12element_wise11PassThroughES8_S8_LNS6_6device18GemmSpecializationE0ELNS_25InMemoryDataOperationEnumE0ELi1ELi256ELi256ELi128ELi64ELi16ELi16ELi16ELi16ELi8ELi4ENS_8SequenceIJLi4ELi64ELi1EEEENSC_IJLi1ELi0ELi2EEEESE_Li2ELi16ELi16ELb0ELi1ESD_SE_SE_Li2ELi8ELi8ELb0ELi1ELi1ELi1ENSC_IJLi1ELi32ELi1ELi8EEEELi4ELNS_13LoopSchedulerE0ELNS_15PipelineVersionE0EaaEELb1EEEvNT_8ArgumentE
		.amdhsa_group_segment_fixed_size 0
		.amdhsa_private_segment_fixed_size 0
		.amdhsa_kernarg_size 96
		.amdhsa_user_sgpr_count 2
		.amdhsa_user_sgpr_dispatch_ptr 0
		.amdhsa_user_sgpr_queue_ptr 0
		.amdhsa_user_sgpr_kernarg_segment_ptr 1
		.amdhsa_user_sgpr_dispatch_id 0
		.amdhsa_user_sgpr_private_segment_size 0
		.amdhsa_wavefront_size32 1
		.amdhsa_uses_dynamic_stack 0
		.amdhsa_enable_private_segment 0
		.amdhsa_system_sgpr_workgroup_id_x 1
		.amdhsa_system_sgpr_workgroup_id_y 0
		.amdhsa_system_sgpr_workgroup_id_z 0
		.amdhsa_system_sgpr_workgroup_info 0
		.amdhsa_system_vgpr_workitem_id 0
		.amdhsa_next_free_vgpr 1
		.amdhsa_next_free_sgpr 1
		.amdhsa_reserve_vcc 0
		.amdhsa_float_round_mode_32 0
		.amdhsa_float_round_mode_16_64 0
		.amdhsa_float_denorm_mode_32 3
		.amdhsa_float_denorm_mode_16_64 3
		.amdhsa_fp16_overflow 0
		.amdhsa_workgroup_processor_mode 1
		.amdhsa_memory_ordered 1
		.amdhsa_forward_progress 1
		.amdhsa_inst_pref_size 1
		.amdhsa_round_robin_scheduling 0
		.amdhsa_exception_fp_ieee_invalid_op 0
		.amdhsa_exception_fp_denorm_src 0
		.amdhsa_exception_fp_ieee_div_zero 0
		.amdhsa_exception_fp_ieee_overflow 0
		.amdhsa_exception_fp_ieee_underflow 0
		.amdhsa_exception_fp_ieee_inexact 0
		.amdhsa_exception_int_div_zero 0
	.end_amdhsa_kernel
	.section	.text._ZN2ck27kernel_gemm_xdl_cshuffle_v1INS_43GridwiseGemm_k0mk1_k0nk1_mn_xdl_cshuffle_v1INS_13tensor_layout4gemm8RowMajorENS3_11ColumnMajorES4_aaiaaNS_16tensor_operation12element_wise11PassThroughES8_S8_LNS6_6device18GemmSpecializationE0ELNS_25InMemoryDataOperationEnumE0ELi1ELi256ELi256ELi128ELi64ELi16ELi16ELi16ELi16ELi8ELi4ENS_8SequenceIJLi4ELi64ELi1EEEENSC_IJLi1ELi0ELi2EEEESE_Li2ELi16ELi16ELb0ELi1ESD_SE_SE_Li2ELi8ELi8ELb0ELi1ELi1ELi1ENSC_IJLi1ELi32ELi1ELi8EEEELi4ELNS_13LoopSchedulerE0ELNS_15PipelineVersionE0EaaEELb1EEEvNT_8ArgumentE,"axG",@progbits,_ZN2ck27kernel_gemm_xdl_cshuffle_v1INS_43GridwiseGemm_k0mk1_k0nk1_mn_xdl_cshuffle_v1INS_13tensor_layout4gemm8RowMajorENS3_11ColumnMajorES4_aaiaaNS_16tensor_operation12element_wise11PassThroughES8_S8_LNS6_6device18GemmSpecializationE0ELNS_25InMemoryDataOperationEnumE0ELi1ELi256ELi256ELi128ELi64ELi16ELi16ELi16ELi16ELi8ELi4ENS_8SequenceIJLi4ELi64ELi1EEEENSC_IJLi1ELi0ELi2EEEESE_Li2ELi16ELi16ELb0ELi1ESD_SE_SE_Li2ELi8ELi8ELb0ELi1ELi1ELi1ENSC_IJLi1ELi32ELi1ELi8EEEELi4ELNS_13LoopSchedulerE0ELNS_15PipelineVersionE0EaaEELb1EEEvNT_8ArgumentE,comdat
.Lfunc_end1:
	.size	_ZN2ck27kernel_gemm_xdl_cshuffle_v1INS_43GridwiseGemm_k0mk1_k0nk1_mn_xdl_cshuffle_v1INS_13tensor_layout4gemm8RowMajorENS3_11ColumnMajorES4_aaiaaNS_16tensor_operation12element_wise11PassThroughES8_S8_LNS6_6device18GemmSpecializationE0ELNS_25InMemoryDataOperationEnumE0ELi1ELi256ELi256ELi128ELi64ELi16ELi16ELi16ELi16ELi8ELi4ENS_8SequenceIJLi4ELi64ELi1EEEENSC_IJLi1ELi0ELi2EEEESE_Li2ELi16ELi16ELb0ELi1ESD_SE_SE_Li2ELi8ELi8ELb0ELi1ELi1ELi1ENSC_IJLi1ELi32ELi1ELi8EEEELi4ELNS_13LoopSchedulerE0ELNS_15PipelineVersionE0EaaEELb1EEEvNT_8ArgumentE, .Lfunc_end1-_ZN2ck27kernel_gemm_xdl_cshuffle_v1INS_43GridwiseGemm_k0mk1_k0nk1_mn_xdl_cshuffle_v1INS_13tensor_layout4gemm8RowMajorENS3_11ColumnMajorES4_aaiaaNS_16tensor_operation12element_wise11PassThroughES8_S8_LNS6_6device18GemmSpecializationE0ELNS_25InMemoryDataOperationEnumE0ELi1ELi256ELi256ELi128ELi64ELi16ELi16ELi16ELi16ELi8ELi4ENS_8SequenceIJLi4ELi64ELi1EEEENSC_IJLi1ELi0ELi2EEEESE_Li2ELi16ELi16ELb0ELi1ESD_SE_SE_Li2ELi8ELi8ELb0ELi1ELi1ELi1ENSC_IJLi1ELi32ELi1ELi8EEEELi4ELNS_13LoopSchedulerE0ELNS_15PipelineVersionE0EaaEELb1EEEvNT_8ArgumentE
                                        ; -- End function
	.set _ZN2ck27kernel_gemm_xdl_cshuffle_v1INS_43GridwiseGemm_k0mk1_k0nk1_mn_xdl_cshuffle_v1INS_13tensor_layout4gemm8RowMajorENS3_11ColumnMajorES4_aaiaaNS_16tensor_operation12element_wise11PassThroughES8_S8_LNS6_6device18GemmSpecializationE0ELNS_25InMemoryDataOperationEnumE0ELi1ELi256ELi256ELi128ELi64ELi16ELi16ELi16ELi16ELi8ELi4ENS_8SequenceIJLi4ELi64ELi1EEEENSC_IJLi1ELi0ELi2EEEESE_Li2ELi16ELi16ELb0ELi1ESD_SE_SE_Li2ELi8ELi8ELb0ELi1ELi1ELi1ENSC_IJLi1ELi32ELi1ELi8EEEELi4ELNS_13LoopSchedulerE0ELNS_15PipelineVersionE0EaaEELb1EEEvNT_8ArgumentE.num_vgpr, 0
	.set _ZN2ck27kernel_gemm_xdl_cshuffle_v1INS_43GridwiseGemm_k0mk1_k0nk1_mn_xdl_cshuffle_v1INS_13tensor_layout4gemm8RowMajorENS3_11ColumnMajorES4_aaiaaNS_16tensor_operation12element_wise11PassThroughES8_S8_LNS6_6device18GemmSpecializationE0ELNS_25InMemoryDataOperationEnumE0ELi1ELi256ELi256ELi128ELi64ELi16ELi16ELi16ELi16ELi8ELi4ENS_8SequenceIJLi4ELi64ELi1EEEENSC_IJLi1ELi0ELi2EEEESE_Li2ELi16ELi16ELb0ELi1ESD_SE_SE_Li2ELi8ELi8ELb0ELi1ELi1ELi1ENSC_IJLi1ELi32ELi1ELi8EEEELi4ELNS_13LoopSchedulerE0ELNS_15PipelineVersionE0EaaEELb1EEEvNT_8ArgumentE.num_agpr, 0
	.set _ZN2ck27kernel_gemm_xdl_cshuffle_v1INS_43GridwiseGemm_k0mk1_k0nk1_mn_xdl_cshuffle_v1INS_13tensor_layout4gemm8RowMajorENS3_11ColumnMajorES4_aaiaaNS_16tensor_operation12element_wise11PassThroughES8_S8_LNS6_6device18GemmSpecializationE0ELNS_25InMemoryDataOperationEnumE0ELi1ELi256ELi256ELi128ELi64ELi16ELi16ELi16ELi16ELi8ELi4ENS_8SequenceIJLi4ELi64ELi1EEEENSC_IJLi1ELi0ELi2EEEESE_Li2ELi16ELi16ELb0ELi1ESD_SE_SE_Li2ELi8ELi8ELb0ELi1ELi1ELi1ENSC_IJLi1ELi32ELi1ELi8EEEELi4ELNS_13LoopSchedulerE0ELNS_15PipelineVersionE0EaaEELb1EEEvNT_8ArgumentE.numbered_sgpr, 0
	.set _ZN2ck27kernel_gemm_xdl_cshuffle_v1INS_43GridwiseGemm_k0mk1_k0nk1_mn_xdl_cshuffle_v1INS_13tensor_layout4gemm8RowMajorENS3_11ColumnMajorES4_aaiaaNS_16tensor_operation12element_wise11PassThroughES8_S8_LNS6_6device18GemmSpecializationE0ELNS_25InMemoryDataOperationEnumE0ELi1ELi256ELi256ELi128ELi64ELi16ELi16ELi16ELi16ELi8ELi4ENS_8SequenceIJLi4ELi64ELi1EEEENSC_IJLi1ELi0ELi2EEEESE_Li2ELi16ELi16ELb0ELi1ESD_SE_SE_Li2ELi8ELi8ELb0ELi1ELi1ELi1ENSC_IJLi1ELi32ELi1ELi8EEEELi4ELNS_13LoopSchedulerE0ELNS_15PipelineVersionE0EaaEELb1EEEvNT_8ArgumentE.num_named_barrier, 0
	.set _ZN2ck27kernel_gemm_xdl_cshuffle_v1INS_43GridwiseGemm_k0mk1_k0nk1_mn_xdl_cshuffle_v1INS_13tensor_layout4gemm8RowMajorENS3_11ColumnMajorES4_aaiaaNS_16tensor_operation12element_wise11PassThroughES8_S8_LNS6_6device18GemmSpecializationE0ELNS_25InMemoryDataOperationEnumE0ELi1ELi256ELi256ELi128ELi64ELi16ELi16ELi16ELi16ELi8ELi4ENS_8SequenceIJLi4ELi64ELi1EEEENSC_IJLi1ELi0ELi2EEEESE_Li2ELi16ELi16ELb0ELi1ESD_SE_SE_Li2ELi8ELi8ELb0ELi1ELi1ELi1ENSC_IJLi1ELi32ELi1ELi8EEEELi4ELNS_13LoopSchedulerE0ELNS_15PipelineVersionE0EaaEELb1EEEvNT_8ArgumentE.private_seg_size, 0
	.set _ZN2ck27kernel_gemm_xdl_cshuffle_v1INS_43GridwiseGemm_k0mk1_k0nk1_mn_xdl_cshuffle_v1INS_13tensor_layout4gemm8RowMajorENS3_11ColumnMajorES4_aaiaaNS_16tensor_operation12element_wise11PassThroughES8_S8_LNS6_6device18GemmSpecializationE0ELNS_25InMemoryDataOperationEnumE0ELi1ELi256ELi256ELi128ELi64ELi16ELi16ELi16ELi16ELi8ELi4ENS_8SequenceIJLi4ELi64ELi1EEEENSC_IJLi1ELi0ELi2EEEESE_Li2ELi16ELi16ELb0ELi1ESD_SE_SE_Li2ELi8ELi8ELb0ELi1ELi1ELi1ENSC_IJLi1ELi32ELi1ELi8EEEELi4ELNS_13LoopSchedulerE0ELNS_15PipelineVersionE0EaaEELb1EEEvNT_8ArgumentE.uses_vcc, 0
	.set _ZN2ck27kernel_gemm_xdl_cshuffle_v1INS_43GridwiseGemm_k0mk1_k0nk1_mn_xdl_cshuffle_v1INS_13tensor_layout4gemm8RowMajorENS3_11ColumnMajorES4_aaiaaNS_16tensor_operation12element_wise11PassThroughES8_S8_LNS6_6device18GemmSpecializationE0ELNS_25InMemoryDataOperationEnumE0ELi1ELi256ELi256ELi128ELi64ELi16ELi16ELi16ELi16ELi8ELi4ENS_8SequenceIJLi4ELi64ELi1EEEENSC_IJLi1ELi0ELi2EEEESE_Li2ELi16ELi16ELb0ELi1ESD_SE_SE_Li2ELi8ELi8ELb0ELi1ELi1ELi1ENSC_IJLi1ELi32ELi1ELi8EEEELi4ELNS_13LoopSchedulerE0ELNS_15PipelineVersionE0EaaEELb1EEEvNT_8ArgumentE.uses_flat_scratch, 0
	.set _ZN2ck27kernel_gemm_xdl_cshuffle_v1INS_43GridwiseGemm_k0mk1_k0nk1_mn_xdl_cshuffle_v1INS_13tensor_layout4gemm8RowMajorENS3_11ColumnMajorES4_aaiaaNS_16tensor_operation12element_wise11PassThroughES8_S8_LNS6_6device18GemmSpecializationE0ELNS_25InMemoryDataOperationEnumE0ELi1ELi256ELi256ELi128ELi64ELi16ELi16ELi16ELi16ELi8ELi4ENS_8SequenceIJLi4ELi64ELi1EEEENSC_IJLi1ELi0ELi2EEEESE_Li2ELi16ELi16ELb0ELi1ESD_SE_SE_Li2ELi8ELi8ELb0ELi1ELi1ELi1ENSC_IJLi1ELi32ELi1ELi8EEEELi4ELNS_13LoopSchedulerE0ELNS_15PipelineVersionE0EaaEELb1EEEvNT_8ArgumentE.has_dyn_sized_stack, 0
	.set _ZN2ck27kernel_gemm_xdl_cshuffle_v1INS_43GridwiseGemm_k0mk1_k0nk1_mn_xdl_cshuffle_v1INS_13tensor_layout4gemm8RowMajorENS3_11ColumnMajorES4_aaiaaNS_16tensor_operation12element_wise11PassThroughES8_S8_LNS6_6device18GemmSpecializationE0ELNS_25InMemoryDataOperationEnumE0ELi1ELi256ELi256ELi128ELi64ELi16ELi16ELi16ELi16ELi8ELi4ENS_8SequenceIJLi4ELi64ELi1EEEENSC_IJLi1ELi0ELi2EEEESE_Li2ELi16ELi16ELb0ELi1ESD_SE_SE_Li2ELi8ELi8ELb0ELi1ELi1ELi1ENSC_IJLi1ELi32ELi1ELi8EEEELi4ELNS_13LoopSchedulerE0ELNS_15PipelineVersionE0EaaEELb1EEEvNT_8ArgumentE.has_recursion, 0
	.set _ZN2ck27kernel_gemm_xdl_cshuffle_v1INS_43GridwiseGemm_k0mk1_k0nk1_mn_xdl_cshuffle_v1INS_13tensor_layout4gemm8RowMajorENS3_11ColumnMajorES4_aaiaaNS_16tensor_operation12element_wise11PassThroughES8_S8_LNS6_6device18GemmSpecializationE0ELNS_25InMemoryDataOperationEnumE0ELi1ELi256ELi256ELi128ELi64ELi16ELi16ELi16ELi16ELi8ELi4ENS_8SequenceIJLi4ELi64ELi1EEEENSC_IJLi1ELi0ELi2EEEESE_Li2ELi16ELi16ELb0ELi1ESD_SE_SE_Li2ELi8ELi8ELb0ELi1ELi1ELi1ENSC_IJLi1ELi32ELi1ELi8EEEELi4ELNS_13LoopSchedulerE0ELNS_15PipelineVersionE0EaaEELb1EEEvNT_8ArgumentE.has_indirect_call, 0
	.section	.AMDGPU.csdata,"",@progbits
; Kernel info:
; codeLenInByte = 4
; TotalNumSgprs: 0
; NumVgprs: 0
; ScratchSize: 0
; MemoryBound: 0
; FloatMode: 240
; IeeeMode: 1
; LDSByteSize: 0 bytes/workgroup (compile time only)
; SGPRBlocks: 0
; VGPRBlocks: 0
; NumSGPRsForWavesPerEU: 1
; NumVGPRsForWavesPerEU: 1
; Occupancy: 16
; WaveLimiterHint : 0
; COMPUTE_PGM_RSRC2:SCRATCH_EN: 0
; COMPUTE_PGM_RSRC2:USER_SGPR: 2
; COMPUTE_PGM_RSRC2:TRAP_HANDLER: 0
; COMPUTE_PGM_RSRC2:TGID_X_EN: 1
; COMPUTE_PGM_RSRC2:TGID_Y_EN: 0
; COMPUTE_PGM_RSRC2:TGID_Z_EN: 0
; COMPUTE_PGM_RSRC2:TIDIG_COMP_CNT: 0
	.section	.text._ZN2ck27kernel_gemm_xdl_cshuffle_v1INS_43GridwiseGemm_k0mk1_k0nk1_mn_xdl_cshuffle_v1INS_13tensor_layout4gemm8RowMajorENS3_11ColumnMajorES4_aaiaaNS_16tensor_operation12element_wise11PassThroughES8_S8_LNS6_6device18GemmSpecializationE0ELNS_25InMemoryDataOperationEnumE0ELi1ELi256ELi256ELi128ELi64ELi16ELi16ELi16ELi16ELi8ELi4ENS_8SequenceIJLi4ELi64ELi1EEEENSC_IJLi1ELi0ELi2EEEESE_Li2ELi16ELi16ELb0ELi1ESD_SE_SE_Li2ELi8ELi8ELb0ELi1ELi1ELi1ENSC_IJLi1ELi32ELi1ELi8EEEELi4ELNS_13LoopSchedulerE0ELNS_15PipelineVersionE0EaaEELb0EEEvNT_8ArgumentE,"axG",@progbits,_ZN2ck27kernel_gemm_xdl_cshuffle_v1INS_43GridwiseGemm_k0mk1_k0nk1_mn_xdl_cshuffle_v1INS_13tensor_layout4gemm8RowMajorENS3_11ColumnMajorES4_aaiaaNS_16tensor_operation12element_wise11PassThroughES8_S8_LNS6_6device18GemmSpecializationE0ELNS_25InMemoryDataOperationEnumE0ELi1ELi256ELi256ELi128ELi64ELi16ELi16ELi16ELi16ELi8ELi4ENS_8SequenceIJLi4ELi64ELi1EEEENSC_IJLi1ELi0ELi2EEEESE_Li2ELi16ELi16ELb0ELi1ESD_SE_SE_Li2ELi8ELi8ELb0ELi1ELi1ELi1ENSC_IJLi1ELi32ELi1ELi8EEEELi4ELNS_13LoopSchedulerE0ELNS_15PipelineVersionE0EaaEELb0EEEvNT_8ArgumentE,comdat
	.protected	_ZN2ck27kernel_gemm_xdl_cshuffle_v1INS_43GridwiseGemm_k0mk1_k0nk1_mn_xdl_cshuffle_v1INS_13tensor_layout4gemm8RowMajorENS3_11ColumnMajorES4_aaiaaNS_16tensor_operation12element_wise11PassThroughES8_S8_LNS6_6device18GemmSpecializationE0ELNS_25InMemoryDataOperationEnumE0ELi1ELi256ELi256ELi128ELi64ELi16ELi16ELi16ELi16ELi8ELi4ENS_8SequenceIJLi4ELi64ELi1EEEENSC_IJLi1ELi0ELi2EEEESE_Li2ELi16ELi16ELb0ELi1ESD_SE_SE_Li2ELi8ELi8ELb0ELi1ELi1ELi1ENSC_IJLi1ELi32ELi1ELi8EEEELi4ELNS_13LoopSchedulerE0ELNS_15PipelineVersionE0EaaEELb0EEEvNT_8ArgumentE ; -- Begin function _ZN2ck27kernel_gemm_xdl_cshuffle_v1INS_43GridwiseGemm_k0mk1_k0nk1_mn_xdl_cshuffle_v1INS_13tensor_layout4gemm8RowMajorENS3_11ColumnMajorES4_aaiaaNS_16tensor_operation12element_wise11PassThroughES8_S8_LNS6_6device18GemmSpecializationE0ELNS_25InMemoryDataOperationEnumE0ELi1ELi256ELi256ELi128ELi64ELi16ELi16ELi16ELi16ELi8ELi4ENS_8SequenceIJLi4ELi64ELi1EEEENSC_IJLi1ELi0ELi2EEEESE_Li2ELi16ELi16ELb0ELi1ESD_SE_SE_Li2ELi8ELi8ELb0ELi1ELi1ELi1ENSC_IJLi1ELi32ELi1ELi8EEEELi4ELNS_13LoopSchedulerE0ELNS_15PipelineVersionE0EaaEELb0EEEvNT_8ArgumentE
	.globl	_ZN2ck27kernel_gemm_xdl_cshuffle_v1INS_43GridwiseGemm_k0mk1_k0nk1_mn_xdl_cshuffle_v1INS_13tensor_layout4gemm8RowMajorENS3_11ColumnMajorES4_aaiaaNS_16tensor_operation12element_wise11PassThroughES8_S8_LNS6_6device18GemmSpecializationE0ELNS_25InMemoryDataOperationEnumE0ELi1ELi256ELi256ELi128ELi64ELi16ELi16ELi16ELi16ELi8ELi4ENS_8SequenceIJLi4ELi64ELi1EEEENSC_IJLi1ELi0ELi2EEEESE_Li2ELi16ELi16ELb0ELi1ESD_SE_SE_Li2ELi8ELi8ELb0ELi1ELi1ELi1ENSC_IJLi1ELi32ELi1ELi8EEEELi4ELNS_13LoopSchedulerE0ELNS_15PipelineVersionE0EaaEELb0EEEvNT_8ArgumentE
	.p2align	8
	.type	_ZN2ck27kernel_gemm_xdl_cshuffle_v1INS_43GridwiseGemm_k0mk1_k0nk1_mn_xdl_cshuffle_v1INS_13tensor_layout4gemm8RowMajorENS3_11ColumnMajorES4_aaiaaNS_16tensor_operation12element_wise11PassThroughES8_S8_LNS6_6device18GemmSpecializationE0ELNS_25InMemoryDataOperationEnumE0ELi1ELi256ELi256ELi128ELi64ELi16ELi16ELi16ELi16ELi8ELi4ENS_8SequenceIJLi4ELi64ELi1EEEENSC_IJLi1ELi0ELi2EEEESE_Li2ELi16ELi16ELb0ELi1ESD_SE_SE_Li2ELi8ELi8ELb0ELi1ELi1ELi1ENSC_IJLi1ELi32ELi1ELi8EEEELi4ELNS_13LoopSchedulerE0ELNS_15PipelineVersionE0EaaEELb0EEEvNT_8ArgumentE,@function
_ZN2ck27kernel_gemm_xdl_cshuffle_v1INS_43GridwiseGemm_k0mk1_k0nk1_mn_xdl_cshuffle_v1INS_13tensor_layout4gemm8RowMajorENS3_11ColumnMajorES4_aaiaaNS_16tensor_operation12element_wise11PassThroughES8_S8_LNS6_6device18GemmSpecializationE0ELNS_25InMemoryDataOperationEnumE0ELi1ELi256ELi256ELi128ELi64ELi16ELi16ELi16ELi16ELi8ELi4ENS_8SequenceIJLi4ELi64ELi1EEEENSC_IJLi1ELi0ELi2EEEESE_Li2ELi16ELi16ELb0ELi1ESD_SE_SE_Li2ELi8ELi8ELb0ELi1ELi1ELi1ENSC_IJLi1ELi32ELi1ELi8EEEELi4ELNS_13LoopSchedulerE0ELNS_15PipelineVersionE0EaaEELb0EEEvNT_8ArgumentE: ; @_ZN2ck27kernel_gemm_xdl_cshuffle_v1INS_43GridwiseGemm_k0mk1_k0nk1_mn_xdl_cshuffle_v1INS_13tensor_layout4gemm8RowMajorENS3_11ColumnMajorES4_aaiaaNS_16tensor_operation12element_wise11PassThroughES8_S8_LNS6_6device18GemmSpecializationE0ELNS_25InMemoryDataOperationEnumE0ELi1ELi256ELi256ELi128ELi64ELi16ELi16ELi16ELi16ELi8ELi4ENS_8SequenceIJLi4ELi64ELi1EEEENSC_IJLi1ELi0ELi2EEEESE_Li2ELi16ELi16ELb0ELi1ESD_SE_SE_Li2ELi8ELi8ELb0ELi1ELi1ELi1ENSC_IJLi1ELi32ELi1ELi8EEEELi4ELNS_13LoopSchedulerE0ELNS_15PipelineVersionE0EaaEELb0EEEvNT_8ArgumentE
; %bb.0:
	s_endpgm
	.section	.rodata,"a",@progbits
	.p2align	6, 0x0
	.amdhsa_kernel _ZN2ck27kernel_gemm_xdl_cshuffle_v1INS_43GridwiseGemm_k0mk1_k0nk1_mn_xdl_cshuffle_v1INS_13tensor_layout4gemm8RowMajorENS3_11ColumnMajorES4_aaiaaNS_16tensor_operation12element_wise11PassThroughES8_S8_LNS6_6device18GemmSpecializationE0ELNS_25InMemoryDataOperationEnumE0ELi1ELi256ELi256ELi128ELi64ELi16ELi16ELi16ELi16ELi8ELi4ENS_8SequenceIJLi4ELi64ELi1EEEENSC_IJLi1ELi0ELi2EEEESE_Li2ELi16ELi16ELb0ELi1ESD_SE_SE_Li2ELi8ELi8ELb0ELi1ELi1ELi1ENSC_IJLi1ELi32ELi1ELi8EEEELi4ELNS_13LoopSchedulerE0ELNS_15PipelineVersionE0EaaEELb0EEEvNT_8ArgumentE
		.amdhsa_group_segment_fixed_size 0
		.amdhsa_private_segment_fixed_size 0
		.amdhsa_kernarg_size 96
		.amdhsa_user_sgpr_count 2
		.amdhsa_user_sgpr_dispatch_ptr 0
		.amdhsa_user_sgpr_queue_ptr 0
		.amdhsa_user_sgpr_kernarg_segment_ptr 1
		.amdhsa_user_sgpr_dispatch_id 0
		.amdhsa_user_sgpr_private_segment_size 0
		.amdhsa_wavefront_size32 1
		.amdhsa_uses_dynamic_stack 0
		.amdhsa_enable_private_segment 0
		.amdhsa_system_sgpr_workgroup_id_x 1
		.amdhsa_system_sgpr_workgroup_id_y 0
		.amdhsa_system_sgpr_workgroup_id_z 0
		.amdhsa_system_sgpr_workgroup_info 0
		.amdhsa_system_vgpr_workitem_id 0
		.amdhsa_next_free_vgpr 1
		.amdhsa_next_free_sgpr 1
		.amdhsa_reserve_vcc 0
		.amdhsa_float_round_mode_32 0
		.amdhsa_float_round_mode_16_64 0
		.amdhsa_float_denorm_mode_32 3
		.amdhsa_float_denorm_mode_16_64 3
		.amdhsa_fp16_overflow 0
		.amdhsa_workgroup_processor_mode 1
		.amdhsa_memory_ordered 1
		.amdhsa_forward_progress 1
		.amdhsa_inst_pref_size 1
		.amdhsa_round_robin_scheduling 0
		.amdhsa_exception_fp_ieee_invalid_op 0
		.amdhsa_exception_fp_denorm_src 0
		.amdhsa_exception_fp_ieee_div_zero 0
		.amdhsa_exception_fp_ieee_overflow 0
		.amdhsa_exception_fp_ieee_underflow 0
		.amdhsa_exception_fp_ieee_inexact 0
		.amdhsa_exception_int_div_zero 0
	.end_amdhsa_kernel
	.section	.text._ZN2ck27kernel_gemm_xdl_cshuffle_v1INS_43GridwiseGemm_k0mk1_k0nk1_mn_xdl_cshuffle_v1INS_13tensor_layout4gemm8RowMajorENS3_11ColumnMajorES4_aaiaaNS_16tensor_operation12element_wise11PassThroughES8_S8_LNS6_6device18GemmSpecializationE0ELNS_25InMemoryDataOperationEnumE0ELi1ELi256ELi256ELi128ELi64ELi16ELi16ELi16ELi16ELi8ELi4ENS_8SequenceIJLi4ELi64ELi1EEEENSC_IJLi1ELi0ELi2EEEESE_Li2ELi16ELi16ELb0ELi1ESD_SE_SE_Li2ELi8ELi8ELb0ELi1ELi1ELi1ENSC_IJLi1ELi32ELi1ELi8EEEELi4ELNS_13LoopSchedulerE0ELNS_15PipelineVersionE0EaaEELb0EEEvNT_8ArgumentE,"axG",@progbits,_ZN2ck27kernel_gemm_xdl_cshuffle_v1INS_43GridwiseGemm_k0mk1_k0nk1_mn_xdl_cshuffle_v1INS_13tensor_layout4gemm8RowMajorENS3_11ColumnMajorES4_aaiaaNS_16tensor_operation12element_wise11PassThroughES8_S8_LNS6_6device18GemmSpecializationE0ELNS_25InMemoryDataOperationEnumE0ELi1ELi256ELi256ELi128ELi64ELi16ELi16ELi16ELi16ELi8ELi4ENS_8SequenceIJLi4ELi64ELi1EEEENSC_IJLi1ELi0ELi2EEEESE_Li2ELi16ELi16ELb0ELi1ESD_SE_SE_Li2ELi8ELi8ELb0ELi1ELi1ELi1ENSC_IJLi1ELi32ELi1ELi8EEEELi4ELNS_13LoopSchedulerE0ELNS_15PipelineVersionE0EaaEELb0EEEvNT_8ArgumentE,comdat
.Lfunc_end2:
	.size	_ZN2ck27kernel_gemm_xdl_cshuffle_v1INS_43GridwiseGemm_k0mk1_k0nk1_mn_xdl_cshuffle_v1INS_13tensor_layout4gemm8RowMajorENS3_11ColumnMajorES4_aaiaaNS_16tensor_operation12element_wise11PassThroughES8_S8_LNS6_6device18GemmSpecializationE0ELNS_25InMemoryDataOperationEnumE0ELi1ELi256ELi256ELi128ELi64ELi16ELi16ELi16ELi16ELi8ELi4ENS_8SequenceIJLi4ELi64ELi1EEEENSC_IJLi1ELi0ELi2EEEESE_Li2ELi16ELi16ELb0ELi1ESD_SE_SE_Li2ELi8ELi8ELb0ELi1ELi1ELi1ENSC_IJLi1ELi32ELi1ELi8EEEELi4ELNS_13LoopSchedulerE0ELNS_15PipelineVersionE0EaaEELb0EEEvNT_8ArgumentE, .Lfunc_end2-_ZN2ck27kernel_gemm_xdl_cshuffle_v1INS_43GridwiseGemm_k0mk1_k0nk1_mn_xdl_cshuffle_v1INS_13tensor_layout4gemm8RowMajorENS3_11ColumnMajorES4_aaiaaNS_16tensor_operation12element_wise11PassThroughES8_S8_LNS6_6device18GemmSpecializationE0ELNS_25InMemoryDataOperationEnumE0ELi1ELi256ELi256ELi128ELi64ELi16ELi16ELi16ELi16ELi8ELi4ENS_8SequenceIJLi4ELi64ELi1EEEENSC_IJLi1ELi0ELi2EEEESE_Li2ELi16ELi16ELb0ELi1ESD_SE_SE_Li2ELi8ELi8ELb0ELi1ELi1ELi1ENSC_IJLi1ELi32ELi1ELi8EEEELi4ELNS_13LoopSchedulerE0ELNS_15PipelineVersionE0EaaEELb0EEEvNT_8ArgumentE
                                        ; -- End function
	.set _ZN2ck27kernel_gemm_xdl_cshuffle_v1INS_43GridwiseGemm_k0mk1_k0nk1_mn_xdl_cshuffle_v1INS_13tensor_layout4gemm8RowMajorENS3_11ColumnMajorES4_aaiaaNS_16tensor_operation12element_wise11PassThroughES8_S8_LNS6_6device18GemmSpecializationE0ELNS_25InMemoryDataOperationEnumE0ELi1ELi256ELi256ELi128ELi64ELi16ELi16ELi16ELi16ELi8ELi4ENS_8SequenceIJLi4ELi64ELi1EEEENSC_IJLi1ELi0ELi2EEEESE_Li2ELi16ELi16ELb0ELi1ESD_SE_SE_Li2ELi8ELi8ELb0ELi1ELi1ELi1ENSC_IJLi1ELi32ELi1ELi8EEEELi4ELNS_13LoopSchedulerE0ELNS_15PipelineVersionE0EaaEELb0EEEvNT_8ArgumentE.num_vgpr, 0
	.set _ZN2ck27kernel_gemm_xdl_cshuffle_v1INS_43GridwiseGemm_k0mk1_k0nk1_mn_xdl_cshuffle_v1INS_13tensor_layout4gemm8RowMajorENS3_11ColumnMajorES4_aaiaaNS_16tensor_operation12element_wise11PassThroughES8_S8_LNS6_6device18GemmSpecializationE0ELNS_25InMemoryDataOperationEnumE0ELi1ELi256ELi256ELi128ELi64ELi16ELi16ELi16ELi16ELi8ELi4ENS_8SequenceIJLi4ELi64ELi1EEEENSC_IJLi1ELi0ELi2EEEESE_Li2ELi16ELi16ELb0ELi1ESD_SE_SE_Li2ELi8ELi8ELb0ELi1ELi1ELi1ENSC_IJLi1ELi32ELi1ELi8EEEELi4ELNS_13LoopSchedulerE0ELNS_15PipelineVersionE0EaaEELb0EEEvNT_8ArgumentE.num_agpr, 0
	.set _ZN2ck27kernel_gemm_xdl_cshuffle_v1INS_43GridwiseGemm_k0mk1_k0nk1_mn_xdl_cshuffle_v1INS_13tensor_layout4gemm8RowMajorENS3_11ColumnMajorES4_aaiaaNS_16tensor_operation12element_wise11PassThroughES8_S8_LNS6_6device18GemmSpecializationE0ELNS_25InMemoryDataOperationEnumE0ELi1ELi256ELi256ELi128ELi64ELi16ELi16ELi16ELi16ELi8ELi4ENS_8SequenceIJLi4ELi64ELi1EEEENSC_IJLi1ELi0ELi2EEEESE_Li2ELi16ELi16ELb0ELi1ESD_SE_SE_Li2ELi8ELi8ELb0ELi1ELi1ELi1ENSC_IJLi1ELi32ELi1ELi8EEEELi4ELNS_13LoopSchedulerE0ELNS_15PipelineVersionE0EaaEELb0EEEvNT_8ArgumentE.numbered_sgpr, 0
	.set _ZN2ck27kernel_gemm_xdl_cshuffle_v1INS_43GridwiseGemm_k0mk1_k0nk1_mn_xdl_cshuffle_v1INS_13tensor_layout4gemm8RowMajorENS3_11ColumnMajorES4_aaiaaNS_16tensor_operation12element_wise11PassThroughES8_S8_LNS6_6device18GemmSpecializationE0ELNS_25InMemoryDataOperationEnumE0ELi1ELi256ELi256ELi128ELi64ELi16ELi16ELi16ELi16ELi8ELi4ENS_8SequenceIJLi4ELi64ELi1EEEENSC_IJLi1ELi0ELi2EEEESE_Li2ELi16ELi16ELb0ELi1ESD_SE_SE_Li2ELi8ELi8ELb0ELi1ELi1ELi1ENSC_IJLi1ELi32ELi1ELi8EEEELi4ELNS_13LoopSchedulerE0ELNS_15PipelineVersionE0EaaEELb0EEEvNT_8ArgumentE.num_named_barrier, 0
	.set _ZN2ck27kernel_gemm_xdl_cshuffle_v1INS_43GridwiseGemm_k0mk1_k0nk1_mn_xdl_cshuffle_v1INS_13tensor_layout4gemm8RowMajorENS3_11ColumnMajorES4_aaiaaNS_16tensor_operation12element_wise11PassThroughES8_S8_LNS6_6device18GemmSpecializationE0ELNS_25InMemoryDataOperationEnumE0ELi1ELi256ELi256ELi128ELi64ELi16ELi16ELi16ELi16ELi8ELi4ENS_8SequenceIJLi4ELi64ELi1EEEENSC_IJLi1ELi0ELi2EEEESE_Li2ELi16ELi16ELb0ELi1ESD_SE_SE_Li2ELi8ELi8ELb0ELi1ELi1ELi1ENSC_IJLi1ELi32ELi1ELi8EEEELi4ELNS_13LoopSchedulerE0ELNS_15PipelineVersionE0EaaEELb0EEEvNT_8ArgumentE.private_seg_size, 0
	.set _ZN2ck27kernel_gemm_xdl_cshuffle_v1INS_43GridwiseGemm_k0mk1_k0nk1_mn_xdl_cshuffle_v1INS_13tensor_layout4gemm8RowMajorENS3_11ColumnMajorES4_aaiaaNS_16tensor_operation12element_wise11PassThroughES8_S8_LNS6_6device18GemmSpecializationE0ELNS_25InMemoryDataOperationEnumE0ELi1ELi256ELi256ELi128ELi64ELi16ELi16ELi16ELi16ELi8ELi4ENS_8SequenceIJLi4ELi64ELi1EEEENSC_IJLi1ELi0ELi2EEEESE_Li2ELi16ELi16ELb0ELi1ESD_SE_SE_Li2ELi8ELi8ELb0ELi1ELi1ELi1ENSC_IJLi1ELi32ELi1ELi8EEEELi4ELNS_13LoopSchedulerE0ELNS_15PipelineVersionE0EaaEELb0EEEvNT_8ArgumentE.uses_vcc, 0
	.set _ZN2ck27kernel_gemm_xdl_cshuffle_v1INS_43GridwiseGemm_k0mk1_k0nk1_mn_xdl_cshuffle_v1INS_13tensor_layout4gemm8RowMajorENS3_11ColumnMajorES4_aaiaaNS_16tensor_operation12element_wise11PassThroughES8_S8_LNS6_6device18GemmSpecializationE0ELNS_25InMemoryDataOperationEnumE0ELi1ELi256ELi256ELi128ELi64ELi16ELi16ELi16ELi16ELi8ELi4ENS_8SequenceIJLi4ELi64ELi1EEEENSC_IJLi1ELi0ELi2EEEESE_Li2ELi16ELi16ELb0ELi1ESD_SE_SE_Li2ELi8ELi8ELb0ELi1ELi1ELi1ENSC_IJLi1ELi32ELi1ELi8EEEELi4ELNS_13LoopSchedulerE0ELNS_15PipelineVersionE0EaaEELb0EEEvNT_8ArgumentE.uses_flat_scratch, 0
	.set _ZN2ck27kernel_gemm_xdl_cshuffle_v1INS_43GridwiseGemm_k0mk1_k0nk1_mn_xdl_cshuffle_v1INS_13tensor_layout4gemm8RowMajorENS3_11ColumnMajorES4_aaiaaNS_16tensor_operation12element_wise11PassThroughES8_S8_LNS6_6device18GemmSpecializationE0ELNS_25InMemoryDataOperationEnumE0ELi1ELi256ELi256ELi128ELi64ELi16ELi16ELi16ELi16ELi8ELi4ENS_8SequenceIJLi4ELi64ELi1EEEENSC_IJLi1ELi0ELi2EEEESE_Li2ELi16ELi16ELb0ELi1ESD_SE_SE_Li2ELi8ELi8ELb0ELi1ELi1ELi1ENSC_IJLi1ELi32ELi1ELi8EEEELi4ELNS_13LoopSchedulerE0ELNS_15PipelineVersionE0EaaEELb0EEEvNT_8ArgumentE.has_dyn_sized_stack, 0
	.set _ZN2ck27kernel_gemm_xdl_cshuffle_v1INS_43GridwiseGemm_k0mk1_k0nk1_mn_xdl_cshuffle_v1INS_13tensor_layout4gemm8RowMajorENS3_11ColumnMajorES4_aaiaaNS_16tensor_operation12element_wise11PassThroughES8_S8_LNS6_6device18GemmSpecializationE0ELNS_25InMemoryDataOperationEnumE0ELi1ELi256ELi256ELi128ELi64ELi16ELi16ELi16ELi16ELi8ELi4ENS_8SequenceIJLi4ELi64ELi1EEEENSC_IJLi1ELi0ELi2EEEESE_Li2ELi16ELi16ELb0ELi1ESD_SE_SE_Li2ELi8ELi8ELb0ELi1ELi1ELi1ENSC_IJLi1ELi32ELi1ELi8EEEELi4ELNS_13LoopSchedulerE0ELNS_15PipelineVersionE0EaaEELb0EEEvNT_8ArgumentE.has_recursion, 0
	.set _ZN2ck27kernel_gemm_xdl_cshuffle_v1INS_43GridwiseGemm_k0mk1_k0nk1_mn_xdl_cshuffle_v1INS_13tensor_layout4gemm8RowMajorENS3_11ColumnMajorES4_aaiaaNS_16tensor_operation12element_wise11PassThroughES8_S8_LNS6_6device18GemmSpecializationE0ELNS_25InMemoryDataOperationEnumE0ELi1ELi256ELi256ELi128ELi64ELi16ELi16ELi16ELi16ELi8ELi4ENS_8SequenceIJLi4ELi64ELi1EEEENSC_IJLi1ELi0ELi2EEEESE_Li2ELi16ELi16ELb0ELi1ESD_SE_SE_Li2ELi8ELi8ELb0ELi1ELi1ELi1ENSC_IJLi1ELi32ELi1ELi8EEEELi4ELNS_13LoopSchedulerE0ELNS_15PipelineVersionE0EaaEELb0EEEvNT_8ArgumentE.has_indirect_call, 0
	.section	.AMDGPU.csdata,"",@progbits
; Kernel info:
; codeLenInByte = 4
; TotalNumSgprs: 0
; NumVgprs: 0
; ScratchSize: 0
; MemoryBound: 0
; FloatMode: 240
; IeeeMode: 1
; LDSByteSize: 0 bytes/workgroup (compile time only)
; SGPRBlocks: 0
; VGPRBlocks: 0
; NumSGPRsForWavesPerEU: 1
; NumVGPRsForWavesPerEU: 1
; Occupancy: 16
; WaveLimiterHint : 0
; COMPUTE_PGM_RSRC2:SCRATCH_EN: 0
; COMPUTE_PGM_RSRC2:USER_SGPR: 2
; COMPUTE_PGM_RSRC2:TRAP_HANDLER: 0
; COMPUTE_PGM_RSRC2:TGID_X_EN: 1
; COMPUTE_PGM_RSRC2:TGID_Y_EN: 0
; COMPUTE_PGM_RSRC2:TGID_Z_EN: 0
; COMPUTE_PGM_RSRC2:TIDIG_COMP_CNT: 0
	.section	.text._ZN2ck27kernel_gemm_xdl_cshuffle_v1INS_43GridwiseGemm_k0mk1_k0nk1_mn_xdl_cshuffle_v1INS_13tensor_layout4gemm8RowMajorENS3_11ColumnMajorES4_aaiaaNS_16tensor_operation12element_wise11PassThroughES8_S8_LNS6_6device18GemmSpecializationE0ELNS_25InMemoryDataOperationEnumE0ELi1ELi256ELi256ELi128ELi64ELi16ELi16ELi16ELi16ELi8ELi2ENS_8SequenceIJLi4ELi64ELi1EEEENSC_IJLi1ELi0ELi2EEEESE_Li2ELi16ELi16ELb0ELi1ESD_SE_SE_Li2ELi8ELi8ELb0ELi1ELi1ELi1ENSC_IJLi1ELi32ELi1ELi8EEEELi4ELNS_13LoopSchedulerE0ELNS_15PipelineVersionE0EaaEELb1EEEvNT_8ArgumentE,"axG",@progbits,_ZN2ck27kernel_gemm_xdl_cshuffle_v1INS_43GridwiseGemm_k0mk1_k0nk1_mn_xdl_cshuffle_v1INS_13tensor_layout4gemm8RowMajorENS3_11ColumnMajorES4_aaiaaNS_16tensor_operation12element_wise11PassThroughES8_S8_LNS6_6device18GemmSpecializationE0ELNS_25InMemoryDataOperationEnumE0ELi1ELi256ELi256ELi128ELi64ELi16ELi16ELi16ELi16ELi8ELi2ENS_8SequenceIJLi4ELi64ELi1EEEENSC_IJLi1ELi0ELi2EEEESE_Li2ELi16ELi16ELb0ELi1ESD_SE_SE_Li2ELi8ELi8ELb0ELi1ELi1ELi1ENSC_IJLi1ELi32ELi1ELi8EEEELi4ELNS_13LoopSchedulerE0ELNS_15PipelineVersionE0EaaEELb1EEEvNT_8ArgumentE,comdat
	.protected	_ZN2ck27kernel_gemm_xdl_cshuffle_v1INS_43GridwiseGemm_k0mk1_k0nk1_mn_xdl_cshuffle_v1INS_13tensor_layout4gemm8RowMajorENS3_11ColumnMajorES4_aaiaaNS_16tensor_operation12element_wise11PassThroughES8_S8_LNS6_6device18GemmSpecializationE0ELNS_25InMemoryDataOperationEnumE0ELi1ELi256ELi256ELi128ELi64ELi16ELi16ELi16ELi16ELi8ELi2ENS_8SequenceIJLi4ELi64ELi1EEEENSC_IJLi1ELi0ELi2EEEESE_Li2ELi16ELi16ELb0ELi1ESD_SE_SE_Li2ELi8ELi8ELb0ELi1ELi1ELi1ENSC_IJLi1ELi32ELi1ELi8EEEELi4ELNS_13LoopSchedulerE0ELNS_15PipelineVersionE0EaaEELb1EEEvNT_8ArgumentE ; -- Begin function _ZN2ck27kernel_gemm_xdl_cshuffle_v1INS_43GridwiseGemm_k0mk1_k0nk1_mn_xdl_cshuffle_v1INS_13tensor_layout4gemm8RowMajorENS3_11ColumnMajorES4_aaiaaNS_16tensor_operation12element_wise11PassThroughES8_S8_LNS6_6device18GemmSpecializationE0ELNS_25InMemoryDataOperationEnumE0ELi1ELi256ELi256ELi128ELi64ELi16ELi16ELi16ELi16ELi8ELi2ENS_8SequenceIJLi4ELi64ELi1EEEENSC_IJLi1ELi0ELi2EEEESE_Li2ELi16ELi16ELb0ELi1ESD_SE_SE_Li2ELi8ELi8ELb0ELi1ELi1ELi1ENSC_IJLi1ELi32ELi1ELi8EEEELi4ELNS_13LoopSchedulerE0ELNS_15PipelineVersionE0EaaEELb1EEEvNT_8ArgumentE
	.globl	_ZN2ck27kernel_gemm_xdl_cshuffle_v1INS_43GridwiseGemm_k0mk1_k0nk1_mn_xdl_cshuffle_v1INS_13tensor_layout4gemm8RowMajorENS3_11ColumnMajorES4_aaiaaNS_16tensor_operation12element_wise11PassThroughES8_S8_LNS6_6device18GemmSpecializationE0ELNS_25InMemoryDataOperationEnumE0ELi1ELi256ELi256ELi128ELi64ELi16ELi16ELi16ELi16ELi8ELi2ENS_8SequenceIJLi4ELi64ELi1EEEENSC_IJLi1ELi0ELi2EEEESE_Li2ELi16ELi16ELb0ELi1ESD_SE_SE_Li2ELi8ELi8ELb0ELi1ELi1ELi1ENSC_IJLi1ELi32ELi1ELi8EEEELi4ELNS_13LoopSchedulerE0ELNS_15PipelineVersionE0EaaEELb1EEEvNT_8ArgumentE
	.p2align	8
	.type	_ZN2ck27kernel_gemm_xdl_cshuffle_v1INS_43GridwiseGemm_k0mk1_k0nk1_mn_xdl_cshuffle_v1INS_13tensor_layout4gemm8RowMajorENS3_11ColumnMajorES4_aaiaaNS_16tensor_operation12element_wise11PassThroughES8_S8_LNS6_6device18GemmSpecializationE0ELNS_25InMemoryDataOperationEnumE0ELi1ELi256ELi256ELi128ELi64ELi16ELi16ELi16ELi16ELi8ELi2ENS_8SequenceIJLi4ELi64ELi1EEEENSC_IJLi1ELi0ELi2EEEESE_Li2ELi16ELi16ELb0ELi1ESD_SE_SE_Li2ELi8ELi8ELb0ELi1ELi1ELi1ENSC_IJLi1ELi32ELi1ELi8EEEELi4ELNS_13LoopSchedulerE0ELNS_15PipelineVersionE0EaaEELb1EEEvNT_8ArgumentE,@function
_ZN2ck27kernel_gemm_xdl_cshuffle_v1INS_43GridwiseGemm_k0mk1_k0nk1_mn_xdl_cshuffle_v1INS_13tensor_layout4gemm8RowMajorENS3_11ColumnMajorES4_aaiaaNS_16tensor_operation12element_wise11PassThroughES8_S8_LNS6_6device18GemmSpecializationE0ELNS_25InMemoryDataOperationEnumE0ELi1ELi256ELi256ELi128ELi64ELi16ELi16ELi16ELi16ELi8ELi2ENS_8SequenceIJLi4ELi64ELi1EEEENSC_IJLi1ELi0ELi2EEEESE_Li2ELi16ELi16ELb0ELi1ESD_SE_SE_Li2ELi8ELi8ELb0ELi1ELi1ELi1ENSC_IJLi1ELi32ELi1ELi8EEEELi4ELNS_13LoopSchedulerE0ELNS_15PipelineVersionE0EaaEELb1EEEvNT_8ArgumentE: ; @_ZN2ck27kernel_gemm_xdl_cshuffle_v1INS_43GridwiseGemm_k0mk1_k0nk1_mn_xdl_cshuffle_v1INS_13tensor_layout4gemm8RowMajorENS3_11ColumnMajorES4_aaiaaNS_16tensor_operation12element_wise11PassThroughES8_S8_LNS6_6device18GemmSpecializationE0ELNS_25InMemoryDataOperationEnumE0ELi1ELi256ELi256ELi128ELi64ELi16ELi16ELi16ELi16ELi8ELi2ENS_8SequenceIJLi4ELi64ELi1EEEENSC_IJLi1ELi0ELi2EEEESE_Li2ELi16ELi16ELb0ELi1ESD_SE_SE_Li2ELi8ELi8ELb0ELi1ELi1ELi1ENSC_IJLi1ELi32ELi1ELi8EEEELi4ELNS_13LoopSchedulerE0ELNS_15PipelineVersionE0EaaEELb1EEEvNT_8ArgumentE
; %bb.0:
	s_clause 0x1
	s_load_b128 s[8:11], s[0:1], 0x10
	s_load_b64 s[20:21], s[0:1], 0x20
	s_abs_i32 s7, ttmp9
	v_and_b32_e32 v129, 0xfc, v0
	v_lshrrev_b32_e32 v132, 1, v0
	v_and_b32_e32 v137, 3, v0
	s_mov_b32 s29, 0
	v_lshrrev_b32_e32 v133, 3, v0
	s_mov_b32 s22, s29
	v_and_b32_e32 v131, 0x7e, v132
	v_lshlrev_b32_e32 v135, 4, v137
	s_mov_b32 s34, s29
	s_mov_b32 s26, s29
	v_and_b32_e32 v139, 2, v133
	s_load_b32 s33, s[0:1], 0x34
	s_delay_alu instid0(VALU_DEP_1)
	v_mul_u32_u24_e32 v169, 0x810, v139
	v_mul_u32_u24_e32 v168, 0x1010, v139
	s_wait_kmcnt 0x0
	s_add_co_i32 s2, s8, 0xff
	s_add_co_i32 s3, s9, 0x7f
	s_ashr_i32 s4, s2, 31
	s_ashr_i32 s5, s3, 31
	s_lshr_b32 s4, s4, 24
	s_lshr_b32 s5, s5, 25
	s_add_co_i32 s2, s2, s4
	s_add_co_i32 s3, s3, s5
	s_ashr_i32 s2, s2, 8
	s_ashr_i32 s3, s3, 7
	s_add_co_i32 s23, s8, -1
	s_mul_i32 s4, s3, s2
	s_add_co_i32 s27, s9, -1
	s_abs_i32 s4, s4
	s_mov_b32 s28, s11
	s_cvt_f32_u32 s5, s4
	s_sub_co_i32 s6, 0, s4
	s_mov_b32 s35, s10
	s_mul_u64 s[24:25], s[22:23], s[28:29]
	v_rcp_iflag_f32_e32 v1, s5
	s_mov_b32 s28, s20
	s_add_nc_u64 s[24:25], s[24:25], s[34:35]
	s_mul_u64 s[26:27], s[26:27], s[28:29]
	s_mov_b32 s14, s25
	s_add_nc_u64 s[26:27], s[26:27], s[34:35]
	s_delay_alu instid0(SALU_CYCLE_1) | instskip(NEXT) | instid1(TRANS32_DEP_1)
	s_mov_b32 s18, s27
	v_readfirstlane_b32 s5, v1
	s_mul_f32 s5, s5, 0x4f7ffffe
	s_wait_alu 0xfffe
	s_delay_alu instid0(SALU_CYCLE_2) | instskip(SKIP_1) | instid1(SALU_CYCLE_2)
	s_cvt_u32_f32 s5, s5
	s_wait_alu 0xfffe
	s_mul_i32 s6, s6, s5
	s_delay_alu instid0(SALU_CYCLE_1) | instskip(NEXT) | instid1(SALU_CYCLE_1)
	s_mul_hi_u32 s6, s5, s6
	s_add_co_i32 s5, s5, s6
	s_ashr_i32 s6, ttmp9, 31
	s_wait_alu 0xfffe
	s_mul_hi_u32 s5, s7, s5
	s_wait_alu 0xfffe
	s_mul_i32 s5, s5, s4
	s_wait_alu 0xfffe
	s_sub_co_i32 s5, s7, s5
	s_wait_alu 0xfffe
	s_sub_co_i32 s7, s5, s4
	s_cmp_ge_u32 s5, s4
	s_cselect_b32 s5, s7, s5
	s_wait_alu 0xfffe
	s_sub_co_i32 s7, s5, s4
	s_cmp_ge_u32 s5, s4
	s_cselect_b32 s4, s7, s5
	s_abs_i32 s5, s3
	s_wait_alu 0xfffe
	s_xor_b32 s4, s4, s6
	s_cvt_f32_u32 s7, s5
	s_sub_co_i32 s8, 0, s5
	s_wait_alu 0xfffe
	s_sub_co_i32 s4, s4, s6
	v_rcp_iflag_f32_e32 v1, s7
	s_delay_alu instid0(TRANS32_DEP_1) | instskip(SKIP_2) | instid1(SALU_CYCLE_2)
	v_readfirstlane_b32 s7, v1
	s_mul_f32 s7, s7, 0x4f7ffffe
	s_wait_alu 0xfffe
	s_cvt_u32_f32 s7, s7
	s_wait_alu 0xfffe
	s_delay_alu instid0(SALU_CYCLE_2) | instskip(NEXT) | instid1(SALU_CYCLE_1)
	s_mul_i32 s8, s8, s7
	s_mul_hi_u32 s6, s7, s8
	s_abs_i32 s8, s4
	s_wait_alu 0xfffe
	s_add_co_i32 s7, s7, s6
	s_wait_alu 0xfffe
	s_mul_hi_u32 s6, s8, s7
	s_xor_b32 s7, s4, s3
	s_wait_alu 0xfffe
	s_mul_i32 s12, s6, s5
	s_ashr_i32 s7, s7, 31
	s_sub_co_i32 s8, s8, s12
	s_add_co_i32 s12, s6, 1
	s_sub_co_i32 s13, s8, s5
	s_cmp_ge_u32 s8, s5
	s_cselect_b32 s6, s12, s6
	s_cselect_b32 s8, s13, s8
	s_wait_alu 0xfffe
	s_add_co_i32 s12, s6, 1
	s_cmp_ge_u32 s8, s5
	s_cselect_b32 s5, s12, s6
	s_lshr_b32 s6, s2, 29
	s_wait_alu 0xfffe
	s_xor_b32 s5, s5, s7
	s_add_co_i32 s6, s2, s6
	s_wait_alu 0xfffe
	s_sub_co_i32 s5, s5, s7
	s_and_b32 s6, s6, -8
	s_wait_alu 0xfffe
	s_mul_i32 s12, s5, s3
	s_sub_co_i32 s2, s2, s6
	s_cmp_ge_i32 s5, s6
	s_cselect_b32 s2, s2, 8
	s_ashr_i32 s8, s5, 31
	s_abs_i32 s6, s2
	s_lshr_b32 s8, s8, 29
	s_wait_alu 0xfffe
	s_cvt_f32_u32 s7, s6
	s_add_co_i32 s8, s5, s8
	s_sub_co_i32 s4, s4, s12
	s_and_b32 s31, s8, -8
	s_wait_alu 0xfffe
	v_rcp_iflag_f32_e32 v1, s7
	s_sub_co_i32 s5, s5, s31
	s_sub_co_i32 s8, 0, s6
	s_wait_alu 0xfffe
	s_mul_i32 s3, s5, s3
	s_delay_alu instid0(SALU_CYCLE_1) | instskip(NEXT) | instid1(SALU_CYCLE_1)
	s_add_co_i32 s12, s3, s4
	s_abs_i32 s4, s12
	s_xor_b32 s5, s12, s2
	s_delay_alu instid0(TRANS32_DEP_1) | instskip(SKIP_2) | instid1(SALU_CYCLE_2)
	v_readfirstlane_b32 s7, v1
	s_mul_f32 s7, s7, 0x4f7ffffe
	s_wait_alu 0xfffe
	s_cvt_u32_f32 s7, s7
	s_wait_alu 0xfffe
	s_delay_alu instid0(SALU_CYCLE_2) | instskip(NEXT) | instid1(SALU_CYCLE_1)
	s_mul_i32 s8, s8, s7
	s_mul_hi_u32 s3, s7, s8
	s_ashr_i32 s8, s5, 31
	s_add_co_i32 s7, s7, s3
	s_wait_alu 0xfffe
	s_mul_hi_u32 s3, s4, s7
	s_delay_alu instid0(SALU_CYCLE_1)
	s_mul_i32 s7, s3, s6
	s_add_co_i32 s5, s3, 1
	s_wait_alu 0xfffe
	s_sub_co_i32 s4, s4, s7
	s_wait_alu 0xfffe
	s_sub_co_i32 s7, s4, s6
	s_cmp_ge_u32 s4, s6
	s_cselect_b32 s5, s5, s3
	s_wait_alu 0xfffe
	s_cselect_b32 s3, s7, s4
	s_add_co_i32 s4, s5, 1
	s_cmp_ge_u32 s3, s6
	s_mov_b32 s3, 0x31004000
	s_wait_alu 0xfffe
	s_cselect_b32 s13, s4, s5
	s_load_b128 s[4:7], s[0:1], 0x48
	s_xor_b32 s13, s13, s8
	s_mov_b32 s15, s3
	s_sub_co_i32 s30, s13, s8
	s_mov_b32 s19, s3
	s_mul_i32 s2, s30, s2
	v_lshl_or_b32 v1, s30, 7, v131
	s_sub_co_i32 s2, s12, s2
	s_mov_b32 s8, s29
	s_add_co_i32 s31, s31, s2
	s_mov_b32 s2, s25
	s_wait_alu 0xfffe
	v_lshl_or_b32 v130, s31, 8, v129
	v_mul_lo_u32 v136, v1, s20
	s_delay_alu instid0(VALU_DEP_2) | instskip(NEXT) | instid1(VALU_DEP_2)
	v_mul_lo_u32 v142, v130, s11
	v_add_nc_u32_e32 v3, v136, v135
	s_wait_kmcnt 0x0
	s_mov_b32 s12, s4
	s_and_b32 s13, s5, 0xffff
	s_mov_b32 s16, s6
	s_delay_alu instid0(VALU_DEP_2)
	v_add_nc_u32_e32 v1, v142, v135
	v_add_nc_u32_e32 v5, s20, v3
	s_and_b32 s17, s7, 0xffff
	v_add_nc_u32_e32 v142, 64, v142
	s_mov_b32 s7, s3
	v_add_nc_u32_e32 v2, s11, v1
	v_add_nc_u32_e32 v7, 8, v5
	s_mov_b32 s5, s17
	s_delay_alu instid0(VALU_DEP_2) | instskip(NEXT) | instid1(VALU_DEP_1)
	v_add_nc_u32_e32 v4, s11, v2
	v_add_nc_u32_e32 v6, s11, v4
	s_clause 0x3
	buffer_load_b128 v[143:146], v1, s[12:15], null offen
	buffer_load_b128 v[147:150], v2, s[12:15], null offen
	;; [unrolled: 1-line block ×4, first 2 shown]
	s_clause 0x2
	buffer_load_b128 v[159:162], v3, s[16:19], null offen
	buffer_load_b64 v[163:164], v5, s[16:19], null offen
	buffer_load_b64 v[165:166], v7, s[16:19], null offen
	v_dual_mov_b32 v1, 0 :: v_dual_and_b32 v134, 15, v0
	v_lshlrev_b32_e32 v0, 3, v0
	s_load_b64 s[14:15], s[0:1], 0x58
	s_ashr_i32 s1, s33, 31
	s_delay_alu instid0(VALU_DEP_2)
	v_mov_b32_e32 v7, v1
	v_dual_mov_b32 v125, v1 :: v_dual_lshlrev_b32 v140, 4, v134
	v_mov_b32_e32 v2, v1
	v_dual_mov_b32 v6, v1 :: v_dual_lshlrev_b32 v129, 4, v129
	v_mul_u32_u24_e32 v138, 0x1010, v137
	v_dual_mov_b32 v4, v1 :: v_dual_mov_b32 v9, v1
	v_mul_u32_u24_e32 v167, 0x810, v137
	v_lshlrev_b32_e32 v131, 4, v131
	v_and_or_b32 v140, 0x300, v0, v140
	v_mad_u32_u24 v170, 0x1010, v137, v129
	v_add_nc_u32_e32 v139, v138, v129
	v_or_b32_e32 v129, 3, v130
	s_delay_alu instid0(VALU_DEP_4)
	v_dual_mov_b32 v127, v1 :: v_dual_add_nc_u32 v138, v140, v169
	v_mad_u32_u24 v171, 0x810, v137, v131
	v_add_nc_u32_e32 v140, v131, v167
	v_or_b32_e32 v131, 2, v130
	v_and_or_b32 v141, v133, 16, v134
	s_lshr_b32 s1, s1, 30
	v_mad_co_u64_u32 v[129:130], null, s11, v129, 64
	s_add_co_i32 s33, s33, s1
	v_mad_co_u64_u32 v[130:131], null, s11, v131, 64
	s_ashr_i32 s12, s33, 2
	v_mov_b32_e32 v3, v1
	v_dual_mov_b32 v5, v1 :: v_dual_mov_b32 v8, v1
	v_dual_mov_b32 v10, v1 :: v_dual_mov_b32 v11, v1
	v_mov_b32_e32 v16, v1
	v_dual_mov_b32 v12, v1 :: v_dual_mov_b32 v13, v1
	v_mov_b32_e32 v18, v1
	v_dual_mov_b32 v14, v1 :: v_dual_mov_b32 v15, v1
	v_dual_mov_b32 v20, v1 :: v_dual_mov_b32 v17, v1
	;; [unrolled: 1-line block ×55, first 2 shown]
	v_mov_b32_e32 v128, v1
	v_lshl_add_u32 v137, v141, 4, v168
	v_add_nc_u32_e32 v141, s20, v136
	v_add_nc_u32_e32 v131, s11, v142
	s_max_i32 s12, s12, 2
	s_mov_b32 s0, s4
	s_mov_b32 s4, s6
	;; [unrolled: 1-line block ×4, first 2 shown]
	s_add_co_i32 s10, s12, -1
	s_wait_loadcnt 0x6
	ds_store_b128 v170, v[143:146]
	s_wait_loadcnt 0x5
	ds_store_b128 v170, v[147:150] offset:16
	s_wait_loadcnt 0x4
	ds_store_b128 v170, v[151:154] offset:32
	;; [unrolled: 2-line block ×5, first 2 shown]
.LBB3_1:                                ; =>This Inner Loop Header: Depth=1
	v_add_nc_u32_e32 v143, v135, v142
	v_add_nc_u32_e32 v159, v135, v136
	;; [unrolled: 1-line block ×6, first 2 shown]
	s_clause 0x3
	buffer_load_b128 v[143:146], v143, s[0:3], null offen
	buffer_load_b128 v[147:150], v147, s[0:3], null offen
	;; [unrolled: 1-line block ×4, first 2 shown]
	s_wait_dscnt 0x0
	s_barrier_signal -1
	s_barrier_wait -1
	s_clause 0x1
	buffer_load_b128 v[159:162], v159, s[4:7], null offen offset:64
	buffer_load_b128 v[163:166], v163, s[4:7], null offen offset:64
	ds_load_b128 v[167:170], v137
	ds_load_b128 v[171:174], v138 offset:16432
	ds_load_b128 v[175:178], v138 offset:17456
	;; [unrolled: 1-line block ×4, first 2 shown]
	v_add_nc_u32_e32 v141, 64, v141
	v_add_nc_u32_e32 v136, 64, v136
	;; [unrolled: 1-line block ×6, first 2 shown]
	s_add_co_i32 s10, s10, -1
	s_wait_alu 0xfffe
	s_cmp_lg_u32 s10, 0
	s_wait_dscnt 0x3
	v_wmma_i32_16x16x16_iu8 v[121:128], v[167:168], v[171:172], v[121:128] neg_lo:[1,1,0]
	s_wait_dscnt 0x2
	v_wmma_i32_16x16x16_iu8 v[113:120], v[167:168], v[175:176], v[113:120] neg_lo:[1,1,0]
	s_wait_dscnt 0x1
	v_wmma_i32_16x16x16_iu8 v[97:104], v[179:180], v[171:172], v[97:104] neg_lo:[1,1,0]
	v_wmma_i32_16x16x16_iu8 v[105:112], v[179:180], v[175:176], v[105:112] neg_lo:[1,1,0]
	s_wait_dscnt 0x0
	v_wmma_i32_16x16x16_iu8 v[89:96], v[183:184], v[171:172], v[89:96] neg_lo:[1,1,0]
	v_wmma_i32_16x16x16_iu8 v[121:128], v[169:170], v[173:174], v[121:128] neg_lo:[1,1,0]
	;; [unrolled: 1-line block ×3, first 2 shown]
	ds_load_b128 v[167:170], v137 offset:1536
	v_wmma_i32_16x16x16_iu8 v[97:104], v[181:182], v[173:174], v[97:104] neg_lo:[1,1,0]
	v_wmma_i32_16x16x16_iu8 v[105:112], v[181:182], v[177:178], v[105:112] neg_lo:[1,1,0]
	ds_load_b128 v[179:182], v137 offset:2048
	v_wmma_i32_16x16x16_iu8 v[81:88], v[183:184], v[175:176], v[81:88] neg_lo:[1,1,0]
	v_wmma_i32_16x16x16_iu8 v[89:96], v[185:186], v[173:174], v[89:96] neg_lo:[1,1,0]
	s_delay_alu instid0(VALU_DEP_2)
	v_wmma_i32_16x16x16_iu8 v[81:88], v[185:186], v[177:178], v[81:88] neg_lo:[1,1,0]
	ds_load_b128 v[183:186], v137 offset:2560
	s_wait_dscnt 0x2
	v_wmma_i32_16x16x16_iu8 v[65:72], v[167:168], v[171:172], v[65:72] neg_lo:[1,1,0]
	v_wmma_i32_16x16x16_iu8 v[73:80], v[167:168], v[175:176], v[73:80] neg_lo:[1,1,0]
	s_wait_dscnt 0x1
	v_wmma_i32_16x16x16_iu8 v[57:64], v[179:180], v[171:172], v[57:64] neg_lo:[1,1,0]
	v_wmma_i32_16x16x16_iu8 v[49:56], v[179:180], v[175:176], v[49:56] neg_lo:[1,1,0]
	;; [unrolled: 1-line block ×4, first 2 shown]
	ds_load_b128 v[167:170], v137 offset:3072
	v_wmma_i32_16x16x16_iu8 v[57:64], v[181:182], v[173:174], v[57:64] neg_lo:[1,1,0]
	v_wmma_i32_16x16x16_iu8 v[49:56], v[181:182], v[177:178], v[49:56] neg_lo:[1,1,0]
	ds_load_b128 v[179:182], v137 offset:3584
	s_wait_dscnt 0x2
	v_wmma_i32_16x16x16_iu8 v[33:40], v[183:184], v[171:172], v[33:40] neg_lo:[1,1,0]
	v_wmma_i32_16x16x16_iu8 v[41:48], v[183:184], v[175:176], v[41:48] neg_lo:[1,1,0]
	s_delay_alu instid0(VALU_DEP_2) | instskip(NEXT) | instid1(VALU_DEP_2)
	v_wmma_i32_16x16x16_iu8 v[33:40], v[185:186], v[173:174], v[33:40] neg_lo:[1,1,0]
	v_wmma_i32_16x16x16_iu8 v[41:48], v[185:186], v[177:178], v[41:48] neg_lo:[1,1,0]
	ds_load_b128 v[183:186], v137 offset:4112
	s_wait_dscnt 0x2
	v_wmma_i32_16x16x16_iu8 v[25:32], v[167:168], v[171:172], v[25:32] neg_lo:[1,1,0]
	v_wmma_i32_16x16x16_iu8 v[17:24], v[167:168], v[175:176], v[17:24] neg_lo:[1,1,0]
	s_wait_dscnt 0x1
	v_wmma_i32_16x16x16_iu8 v[9:16], v[179:180], v[171:172], v[9:16] neg_lo:[1,1,0]
	v_wmma_i32_16x16x16_iu8 v[1:8], v[179:180], v[175:176], v[1:8] neg_lo:[1,1,0]
	;; [unrolled: 1-line block ×4, first 2 shown]
	ds_load_b128 v[167:170], v138 offset:18496
	v_wmma_i32_16x16x16_iu8 v[9:16], v[181:182], v[173:174], v[9:16] neg_lo:[1,1,0]
	ds_load_b128 v[171:174], v138 offset:19520
	v_wmma_i32_16x16x16_iu8 v[1:8], v[181:182], v[177:178], v[1:8] neg_lo:[1,1,0]
	ds_load_b128 v[175:178], v137 offset:4624
	ds_load_b128 v[179:182], v137 offset:5136
	s_wait_dscnt 0x3
	v_wmma_i32_16x16x16_iu8 v[121:128], v[183:184], v[167:168], v[121:128] neg_lo:[1,1,0]
	s_wait_dscnt 0x2
	v_wmma_i32_16x16x16_iu8 v[113:120], v[183:184], v[171:172], v[113:120] neg_lo:[1,1,0]
	;; [unrolled: 2-line block ×3, first 2 shown]
	v_wmma_i32_16x16x16_iu8 v[105:112], v[175:176], v[171:172], v[105:112] neg_lo:[1,1,0]
	v_wmma_i32_16x16x16_iu8 v[121:128], v[185:186], v[169:170], v[121:128] neg_lo:[1,1,0]
	s_wait_dscnt 0x0
	v_wmma_i32_16x16x16_iu8 v[89:96], v[179:180], v[167:168], v[89:96] neg_lo:[1,1,0]
	v_wmma_i32_16x16x16_iu8 v[113:120], v[185:186], v[173:174], v[113:120] neg_lo:[1,1,0]
	ds_load_b128 v[183:186], v137 offset:5648
	v_wmma_i32_16x16x16_iu8 v[97:104], v[177:178], v[169:170], v[97:104] neg_lo:[1,1,0]
	v_wmma_i32_16x16x16_iu8 v[105:112], v[177:178], v[173:174], v[105:112] neg_lo:[1,1,0]
	ds_load_b128 v[175:178], v137 offset:6160
	v_wmma_i32_16x16x16_iu8 v[81:88], v[179:180], v[171:172], v[81:88] neg_lo:[1,1,0]
	v_wmma_i32_16x16x16_iu8 v[89:96], v[181:182], v[169:170], v[89:96] neg_lo:[1,1,0]
	s_delay_alu instid0(VALU_DEP_2)
	v_wmma_i32_16x16x16_iu8 v[81:88], v[181:182], v[173:174], v[81:88] neg_lo:[1,1,0]
	ds_load_b128 v[179:182], v137 offset:6672
	s_wait_dscnt 0x2
	v_wmma_i32_16x16x16_iu8 v[65:72], v[183:184], v[167:168], v[65:72] neg_lo:[1,1,0]
	v_wmma_i32_16x16x16_iu8 v[73:80], v[183:184], v[171:172], v[73:80] neg_lo:[1,1,0]
	s_wait_dscnt 0x1
	v_wmma_i32_16x16x16_iu8 v[57:64], v[175:176], v[167:168], v[57:64] neg_lo:[1,1,0]
	v_wmma_i32_16x16x16_iu8 v[49:56], v[175:176], v[171:172], v[49:56] neg_lo:[1,1,0]
	;; [unrolled: 1-line block ×4, first 2 shown]
	ds_load_b128 v[183:186], v137 offset:7184
	v_wmma_i32_16x16x16_iu8 v[57:64], v[177:178], v[169:170], v[57:64] neg_lo:[1,1,0]
	v_wmma_i32_16x16x16_iu8 v[49:56], v[177:178], v[173:174], v[49:56] neg_lo:[1,1,0]
	ds_load_b128 v[175:178], v137 offset:7696
	s_wait_dscnt 0x2
	v_wmma_i32_16x16x16_iu8 v[33:40], v[179:180], v[167:168], v[33:40] neg_lo:[1,1,0]
	v_wmma_i32_16x16x16_iu8 v[41:48], v[179:180], v[171:172], v[41:48] neg_lo:[1,1,0]
	s_wait_dscnt 0x0
	s_barrier_signal -1
	s_barrier_wait -1
	v_wmma_i32_16x16x16_iu8 v[33:40], v[181:182], v[169:170], v[33:40] neg_lo:[1,1,0]
	v_wmma_i32_16x16x16_iu8 v[41:48], v[181:182], v[173:174], v[41:48] neg_lo:[1,1,0]
	s_wait_loadcnt 0x5
	ds_store_b128 v139, v[143:146]
	s_wait_loadcnt 0x4
	ds_store_b128 v139, v[147:150] offset:16
	s_wait_loadcnt 0x3
	ds_store_b128 v139, v[151:154] offset:32
	s_wait_loadcnt 0x2
	ds_store_b128 v139, v[155:158] offset:48
	s_wait_loadcnt 0x1
	ds_store_b128 v140, v[159:162] offset:16432
	s_wait_loadcnt 0x0
	ds_store_b128 v140, v[163:166] offset:16448
	v_wmma_i32_16x16x16_iu8 v[25:32], v[183:184], v[167:168], v[25:32] neg_lo:[1,1,0]
	v_wmma_i32_16x16x16_iu8 v[17:24], v[183:184], v[171:172], v[17:24] neg_lo:[1,1,0]
	;; [unrolled: 1-line block ×4, first 2 shown]
	s_delay_alu instid0(VALU_DEP_4) | instskip(NEXT) | instid1(VALU_DEP_4)
	v_wmma_i32_16x16x16_iu8 v[25:32], v[185:186], v[169:170], v[25:32] neg_lo:[1,1,0]
	v_wmma_i32_16x16x16_iu8 v[17:24], v[185:186], v[173:174], v[17:24] neg_lo:[1,1,0]
	s_delay_alu instid0(VALU_DEP_4) | instskip(NEXT) | instid1(VALU_DEP_4)
	v_wmma_i32_16x16x16_iu8 v[9:16], v[177:178], v[169:170], v[9:16] neg_lo:[1,1,0]
	v_wmma_i32_16x16x16_iu8 v[1:8], v[177:178], v[173:174], v[1:8] neg_lo:[1,1,0]
	s_cbranch_scc1 .LBB3_1
; %bb.2:
	s_wait_dscnt 0x0
	s_barrier_signal -1
	s_barrier_wait -1
	ds_load_b128 v[139:142], v137
	ds_load_b128 v[143:146], v137 offset:4112
	ds_load_b128 v[147:150], v138 offset:16432
	;; [unrolled: 1-line block ×5, first 2 shown]
	v_and_b32_e32 v129, 8, v132
	v_and_b32_e32 v135, 56, v0
	;; [unrolled: 1-line block ×3, first 2 shown]
	s_mov_b32 s1, 0
	s_mov_b32 s0, s21
	v_and_or_b32 v129, v133, 16, v129
	v_lshl_or_b32 v0, s30, 7, v135
	s_mul_u64 s[0:1], s[22:23], s[0:1]
	s_mov_b32 s3, 0x31004000
	s_add_nc_u64 s[4:5], s[0:1], s[8:9]
	v_lshlrev_b32_e32 v132, 6, v129
	v_lshl_or_b32 v129, s31, 8, v133
	s_wait_kmcnt 0x0
	s_and_b32 s1, s15, 0xffff
	s_mov_b32 s0, s14
	s_wait_alu 0xfffe
	s_mov_b32 s2, s5
	s_lshl_b32 s4, s21, 5
	s_wait_dscnt 0x3
	v_wmma_i32_16x16x16_iu8 v[121:128], v[139:140], v[147:148], v[121:128] neg_lo:[1,1,0]
	s_wait_dscnt 0x1
	v_wmma_i32_16x16x16_iu8 v[113:120], v[139:140], v[155:156], v[113:120] neg_lo:[1,1,0]
	s_delay_alu instid0(VALU_DEP_2) | instskip(NEXT) | instid1(VALU_DEP_2)
	v_wmma_i32_16x16x16_iu8 v[121:128], v[141:142], v[149:150], v[121:128] neg_lo:[1,1,0]
	v_wmma_i32_16x16x16_iu8 v[113:120], v[141:142], v[157:158], v[113:120] neg_lo:[1,1,0]
	s_delay_alu instid0(VALU_DEP_2) | instskip(SKIP_1) | instid1(VALU_DEP_2)
	v_wmma_i32_16x16x16_iu8 v[121:128], v[143:144], v[151:152], v[121:128] neg_lo:[1,1,0]
	s_wait_dscnt 0x0
	v_wmma_i32_16x16x16_iu8 v[113:120], v[143:144], v[159:160], v[113:120] neg_lo:[1,1,0]
	s_delay_alu instid0(VALU_DEP_2) | instskip(NEXT) | instid1(VALU_DEP_2)
	v_wmma_i32_16x16x16_iu8 v[121:128], v[145:146], v[153:154], v[121:128] neg_lo:[1,1,0]
	v_wmma_i32_16x16x16_iu8 v[113:120], v[145:146], v[161:162], v[113:120] neg_lo:[1,1,0]
	ds_load_b128 v[138:141], v137 offset:512
	ds_load_b128 v[142:145], v137 offset:4624
	s_wait_dscnt 0x1
	v_wmma_i32_16x16x16_iu8 v[97:104], v[138:139], v[147:148], v[97:104] neg_lo:[1,1,0]
	v_wmma_i32_16x16x16_iu8 v[105:112], v[138:139], v[155:156], v[105:112] neg_lo:[1,1,0]
	s_delay_alu instid0(VALU_DEP_2) | instskip(NEXT) | instid1(VALU_DEP_2)
	v_wmma_i32_16x16x16_iu8 v[97:104], v[140:141], v[149:150], v[97:104] neg_lo:[1,1,0]
	v_wmma_i32_16x16x16_iu8 v[105:112], v[140:141], v[157:158], v[105:112] neg_lo:[1,1,0]
	s_wait_dscnt 0x0
	s_delay_alu instid0(VALU_DEP_2) | instskip(NEXT) | instid1(VALU_DEP_2)
	v_wmma_i32_16x16x16_iu8 v[97:104], v[142:143], v[151:152], v[97:104] neg_lo:[1,1,0]
	v_wmma_i32_16x16x16_iu8 v[105:112], v[142:143], v[159:160], v[105:112] neg_lo:[1,1,0]
	s_delay_alu instid0(VALU_DEP_2) | instskip(NEXT) | instid1(VALU_DEP_2)
	v_wmma_i32_16x16x16_iu8 v[97:104], v[144:145], v[153:154], v[97:104] neg_lo:[1,1,0]
	v_wmma_i32_16x16x16_iu8 v[105:112], v[144:145], v[161:162], v[105:112] neg_lo:[1,1,0]
	ds_load_b128 v[138:141], v137 offset:1024
	ds_load_b128 v[142:145], v137 offset:5136
	s_wait_dscnt 0x1
	v_wmma_i32_16x16x16_iu8 v[89:96], v[138:139], v[147:148], v[89:96] neg_lo:[1,1,0]
	v_wmma_i32_16x16x16_iu8 v[81:88], v[138:139], v[155:156], v[81:88] neg_lo:[1,1,0]
	s_delay_alu instid0(VALU_DEP_2) | instskip(NEXT) | instid1(VALU_DEP_2)
	v_wmma_i32_16x16x16_iu8 v[89:96], v[140:141], v[149:150], v[89:96] neg_lo:[1,1,0]
	v_wmma_i32_16x16x16_iu8 v[81:88], v[140:141], v[157:158], v[81:88] neg_lo:[1,1,0]
	s_wait_dscnt 0x0
	s_delay_alu instid0(VALU_DEP_2) | instskip(NEXT) | instid1(VALU_DEP_2)
	v_wmma_i32_16x16x16_iu8 v[89:96], v[142:143], v[151:152], v[89:96] neg_lo:[1,1,0]
	;; [unrolled: 15-line block ×6, first 2 shown]
	v_wmma_i32_16x16x16_iu8 v[17:24], v[142:143], v[159:160], v[17:24] neg_lo:[1,1,0]
	s_delay_alu instid0(VALU_DEP_2) | instskip(NEXT) | instid1(VALU_DEP_2)
	v_wmma_i32_16x16x16_iu8 v[25:32], v[144:145], v[153:154], v[25:32] neg_lo:[1,1,0]
	v_wmma_i32_16x16x16_iu8 v[17:24], v[144:145], v[161:162], v[17:24] neg_lo:[1,1,0]
	ds_load_b128 v[138:141], v137 offset:3584
	ds_load_b128 v[142:145], v137 offset:7696
	s_wait_dscnt 0x0
	s_barrier_signal -1
	s_barrier_wait -1
	v_wmma_i32_16x16x16_iu8 v[1:8], v[138:139], v[155:156], v[1:8] neg_lo:[1,1,0]
	v_wmma_i32_16x16x16_iu8 v[9:16], v[138:139], v[147:148], v[9:16] neg_lo:[1,1,0]
	s_delay_alu instid0(VALU_DEP_2) | instskip(NEXT) | instid1(VALU_DEP_2)
	v_wmma_i32_16x16x16_iu8 v[1:8], v[140:141], v[157:158], v[1:8] neg_lo:[1,1,0]
	v_wmma_i32_16x16x16_iu8 v[9:16], v[140:141], v[149:150], v[9:16] neg_lo:[1,1,0]
	s_delay_alu instid0(VALU_DEP_2) | instskip(NEXT) | instid1(VALU_DEP_2)
	;; [unrolled: 3-line block ×3, first 2 shown]
	v_wmma_i32_16x16x16_iu8 v[1:8], v[144:145], v[161:162], v[1:8] neg_lo:[1,1,0]
	v_wmma_i32_16x16x16_iu8 v[9:16], v[144:145], v[153:154], v[9:16] neg_lo:[1,1,0]
	s_delay_alu instid0(VALU_DEP_2)
	v_mad_co_u64_u32 v[129:130], null, v129, s21, v[0:1]
	v_or3_b32 v0, v131, v132, v134
	ds_store_b8 v0, v121
	ds_store_b8 v0, v122 offset:64
	ds_store_b8 v0, v123 offset:128
	;; [unrolled: 1-line block ×7, first 2 shown]
	v_lshl_or_b32 v123, v133, 6, v135
	s_wait_dscnt 0x0
	s_barrier_signal -1
	s_barrier_wait -1
	ds_load_b64 v[121:122], v123
	s_wait_dscnt 0x0
	buffer_store_b64 v[121:122], v129, s[0:3], null offen
	s_wait_dscnt 0x0
	s_barrier_signal -1
	s_barrier_wait -1
	ds_store_b8 v0, v113
	ds_store_b8 v0, v114 offset:64
	ds_store_b8 v0, v115 offset:128
	ds_store_b8 v0, v116 offset:192
	ds_store_b8 v0, v117 offset:256
	ds_store_b8 v0, v118 offset:320
	ds_store_b8 v0, v119 offset:384
	ds_store_b8 v0, v120 offset:448
	s_wait_dscnt 0x0
	s_barrier_signal -1
	s_barrier_wait -1
	ds_load_b64 v[113:114], v123
	s_wait_dscnt 0x0
	buffer_store_b64 v[113:114], v129, s[0:3], null offen offset:64
	s_wait_dscnt 0x0
	s_barrier_signal -1
	s_barrier_wait -1
	ds_store_b8 v0, v105
	ds_store_b8 v0, v106 offset:64
	ds_store_b8 v0, v107 offset:128
	;; [unrolled: 1-line block ×7, first 2 shown]
	s_wait_dscnt 0x0
	s_barrier_signal -1
	s_barrier_wait -1
	ds_load_b64 v[105:106], v123
	v_add_nc_u32_e32 v113, s4, v129
	s_delay_alu instid0(VALU_DEP_1)
	v_add_nc_u32_e32 v114, 64, v113
	s_wait_dscnt 0x0
	buffer_store_b64 v[105:106], v114, s[0:3], null offen
	s_wait_dscnt 0x0
	s_barrier_signal -1
	s_barrier_wait -1
	ds_store_b8 v0, v97
	ds_store_b8 v0, v98 offset:64
	ds_store_b8 v0, v99 offset:128
	;; [unrolled: 1-line block ×7, first 2 shown]
	s_wait_dscnt 0x0
	s_barrier_signal -1
	s_barrier_wait -1
	ds_load_b64 v[97:98], v123
	s_wait_dscnt 0x0
	buffer_store_b64 v[97:98], v113, s[0:3], null offen
	s_wait_dscnt 0x0
	s_barrier_signal -1
	s_barrier_wait -1
	ds_store_b8 v0, v89
	ds_store_b8 v0, v90 offset:64
	ds_store_b8 v0, v91 offset:128
	;; [unrolled: 1-line block ×7, first 2 shown]
	s_wait_dscnt 0x0
	s_barrier_signal -1
	s_barrier_wait -1
	ds_load_b64 v[89:90], v123
	v_add_nc_u32_e32 v97, s4, v113
	s_wait_dscnt 0x0
	buffer_store_b64 v[89:90], v97, s[0:3], null offen
	s_wait_dscnt 0x0
	s_barrier_signal -1
	s_barrier_wait -1
	ds_store_b8 v0, v81
	ds_store_b8 v0, v82 offset:64
	ds_store_b8 v0, v83 offset:128
	;; [unrolled: 1-line block ×7, first 2 shown]
	s_wait_dscnt 0x0
	s_barrier_signal -1
	s_barrier_wait -1
	ds_load_b64 v[81:82], v123
	s_wait_dscnt 0x0
	buffer_store_b64 v[81:82], v97, s[0:3], null offen offset:64
	s_wait_dscnt 0x0
	s_barrier_signal -1
	s_barrier_wait -1
	ds_store_b8 v0, v73
	ds_store_b8 v0, v74 offset:64
	ds_store_b8 v0, v75 offset:128
	;; [unrolled: 1-line block ×7, first 2 shown]
	s_wait_dscnt 0x0
	s_barrier_signal -1
	s_barrier_wait -1
	ds_load_b64 v[73:74], v123
	v_add_nc_u32_e32 v81, s4, v97
	s_delay_alu instid0(VALU_DEP_1)
	v_add_nc_u32_e32 v82, 64, v81
	s_wait_dscnt 0x0
	buffer_store_b64 v[73:74], v82, s[0:3], null offen
	s_wait_dscnt 0x0
	s_barrier_signal -1
	s_barrier_wait -1
	ds_store_b8 v0, v65
	ds_store_b8 v0, v66 offset:64
	ds_store_b8 v0, v67 offset:128
	;; [unrolled: 1-line block ×7, first 2 shown]
	s_wait_dscnt 0x0
	s_barrier_signal -1
	s_barrier_wait -1
	ds_load_b64 v[65:66], v123
	s_wait_dscnt 0x0
	buffer_store_b64 v[65:66], v81, s[0:3], null offen
	s_wait_dscnt 0x0
	s_barrier_signal -1
	s_barrier_wait -1
	ds_store_b8 v0, v57
	ds_store_b8 v0, v58 offset:64
	ds_store_b8 v0, v59 offset:128
	;; [unrolled: 1-line block ×7, first 2 shown]
	s_wait_dscnt 0x0
	s_barrier_signal -1
	s_barrier_wait -1
	ds_load_b64 v[57:58], v123
	v_add_nc_u32_e32 v65, s4, v81
	s_wait_dscnt 0x0
	buffer_store_b64 v[57:58], v65, s[0:3], null offen
	s_wait_dscnt 0x0
	s_barrier_signal -1
	s_barrier_wait -1
	ds_store_b8 v0, v49
	ds_store_b8 v0, v50 offset:64
	ds_store_b8 v0, v51 offset:128
	;; [unrolled: 1-line block ×7, first 2 shown]
	s_wait_dscnt 0x0
	s_barrier_signal -1
	s_barrier_wait -1
	ds_load_b64 v[49:50], v123
	s_wait_dscnt 0x0
	buffer_store_b64 v[49:50], v65, s[0:3], null offen offset:64
	s_wait_dscnt 0x0
	s_barrier_signal -1
	s_barrier_wait -1
	ds_store_b8 v0, v41
	ds_store_b8 v0, v42 offset:64
	ds_store_b8 v0, v43 offset:128
	;; [unrolled: 1-line block ×7, first 2 shown]
	s_wait_dscnt 0x0
	s_barrier_signal -1
	s_barrier_wait -1
	ds_load_b64 v[41:42], v123
	v_add_nc_u32_e32 v49, s4, v65
	s_delay_alu instid0(VALU_DEP_1)
	v_add_nc_u32_e32 v50, 64, v49
	s_wait_dscnt 0x0
	buffer_store_b64 v[41:42], v50, s[0:3], null offen
	s_wait_dscnt 0x0
	s_barrier_signal -1
	s_barrier_wait -1
	ds_store_b8 v0, v33
	ds_store_b8 v0, v34 offset:64
	ds_store_b8 v0, v35 offset:128
	;; [unrolled: 1-line block ×7, first 2 shown]
	s_wait_dscnt 0x0
	s_barrier_signal -1
	s_barrier_wait -1
	ds_load_b64 v[33:34], v123
	s_wait_dscnt 0x0
	buffer_store_b64 v[33:34], v49, s[0:3], null offen
	s_wait_dscnt 0x0
	s_barrier_signal -1
	s_barrier_wait -1
	ds_store_b8 v0, v25
	ds_store_b8 v0, v26 offset:64
	ds_store_b8 v0, v27 offset:128
	;; [unrolled: 1-line block ×7, first 2 shown]
	s_wait_dscnt 0x0
	s_barrier_signal -1
	s_barrier_wait -1
	ds_load_b64 v[25:26], v123
	v_add_nc_u32_e32 v33, s4, v49
	s_wait_dscnt 0x0
	buffer_store_b64 v[25:26], v33, s[0:3], null offen
	s_wait_dscnt 0x0
	s_barrier_signal -1
	s_barrier_wait -1
	ds_store_b8 v0, v17
	ds_store_b8 v0, v18 offset:64
	ds_store_b8 v0, v19 offset:128
	;; [unrolled: 1-line block ×7, first 2 shown]
	s_wait_dscnt 0x0
	s_barrier_signal -1
	s_barrier_wait -1
	ds_load_b64 v[17:18], v123
	s_wait_dscnt 0x0
	buffer_store_b64 v[17:18], v33, s[0:3], null offen offset:64
	s_wait_dscnt 0x0
	s_barrier_signal -1
	s_barrier_wait -1
	ds_store_b8 v0, v1
	ds_store_b8 v0, v2 offset:64
	ds_store_b8 v0, v3 offset:128
	;; [unrolled: 1-line block ×7, first 2 shown]
	s_wait_dscnt 0x0
	s_barrier_signal -1
	s_barrier_wait -1
	ds_load_b64 v[1:2], v123
	v_add_nc_u32_e32 v17, s4, v33
	s_delay_alu instid0(VALU_DEP_1)
	v_add_nc_u32_e32 v18, 64, v17
	s_wait_dscnt 0x0
	buffer_store_b64 v[1:2], v18, s[0:3], null offen
	s_wait_dscnt 0x0
	s_barrier_signal -1
	s_barrier_wait -1
	ds_store_b8 v0, v9
	ds_store_b8 v0, v10 offset:64
	ds_store_b8 v0, v11 offset:128
	;; [unrolled: 1-line block ×7, first 2 shown]
	s_wait_dscnt 0x0
	s_barrier_signal -1
	s_barrier_wait -1
	ds_load_b64 v[0:1], v123
	s_wait_dscnt 0x0
	buffer_store_b64 v[0:1], v17, s[0:3], null offen
	s_nop 0
	s_sendmsg sendmsg(MSG_DEALLOC_VGPRS)
	s_endpgm
	.section	.rodata,"a",@progbits
	.p2align	6, 0x0
	.amdhsa_kernel _ZN2ck27kernel_gemm_xdl_cshuffle_v1INS_43GridwiseGemm_k0mk1_k0nk1_mn_xdl_cshuffle_v1INS_13tensor_layout4gemm8RowMajorENS3_11ColumnMajorES4_aaiaaNS_16tensor_operation12element_wise11PassThroughES8_S8_LNS6_6device18GemmSpecializationE0ELNS_25InMemoryDataOperationEnumE0ELi1ELi256ELi256ELi128ELi64ELi16ELi16ELi16ELi16ELi8ELi2ENS_8SequenceIJLi4ELi64ELi1EEEENSC_IJLi1ELi0ELi2EEEESE_Li2ELi16ELi16ELb0ELi1ESD_SE_SE_Li2ELi8ELi8ELb0ELi1ELi1ELi1ENSC_IJLi1ELi32ELi1ELi8EEEELi4ELNS_13LoopSchedulerE0ELNS_15PipelineVersionE0EaaEELb1EEEvNT_8ArgumentE
		.amdhsa_group_segment_fixed_size 24672
		.amdhsa_private_segment_fixed_size 0
		.amdhsa_kernarg_size 96
		.amdhsa_user_sgpr_count 2
		.amdhsa_user_sgpr_dispatch_ptr 0
		.amdhsa_user_sgpr_queue_ptr 0
		.amdhsa_user_sgpr_kernarg_segment_ptr 1
		.amdhsa_user_sgpr_dispatch_id 0
		.amdhsa_user_sgpr_private_segment_size 0
		.amdhsa_wavefront_size32 1
		.amdhsa_uses_dynamic_stack 0
		.amdhsa_enable_private_segment 0
		.amdhsa_system_sgpr_workgroup_id_x 1
		.amdhsa_system_sgpr_workgroup_id_y 0
		.amdhsa_system_sgpr_workgroup_id_z 0
		.amdhsa_system_sgpr_workgroup_info 0
		.amdhsa_system_vgpr_workitem_id 0
		.amdhsa_next_free_vgpr 187
		.amdhsa_next_free_sgpr 36
		.amdhsa_reserve_vcc 0
		.amdhsa_float_round_mode_32 0
		.amdhsa_float_round_mode_16_64 0
		.amdhsa_float_denorm_mode_32 3
		.amdhsa_float_denorm_mode_16_64 3
		.amdhsa_fp16_overflow 0
		.amdhsa_workgroup_processor_mode 1
		.amdhsa_memory_ordered 1
		.amdhsa_forward_progress 1
		.amdhsa_inst_pref_size 44
		.amdhsa_round_robin_scheduling 0
		.amdhsa_exception_fp_ieee_invalid_op 0
		.amdhsa_exception_fp_denorm_src 0
		.amdhsa_exception_fp_ieee_div_zero 0
		.amdhsa_exception_fp_ieee_overflow 0
		.amdhsa_exception_fp_ieee_underflow 0
		.amdhsa_exception_fp_ieee_inexact 0
		.amdhsa_exception_int_div_zero 0
	.end_amdhsa_kernel
	.section	.text._ZN2ck27kernel_gemm_xdl_cshuffle_v1INS_43GridwiseGemm_k0mk1_k0nk1_mn_xdl_cshuffle_v1INS_13tensor_layout4gemm8RowMajorENS3_11ColumnMajorES4_aaiaaNS_16tensor_operation12element_wise11PassThroughES8_S8_LNS6_6device18GemmSpecializationE0ELNS_25InMemoryDataOperationEnumE0ELi1ELi256ELi256ELi128ELi64ELi16ELi16ELi16ELi16ELi8ELi2ENS_8SequenceIJLi4ELi64ELi1EEEENSC_IJLi1ELi0ELi2EEEESE_Li2ELi16ELi16ELb0ELi1ESD_SE_SE_Li2ELi8ELi8ELb0ELi1ELi1ELi1ENSC_IJLi1ELi32ELi1ELi8EEEELi4ELNS_13LoopSchedulerE0ELNS_15PipelineVersionE0EaaEELb1EEEvNT_8ArgumentE,"axG",@progbits,_ZN2ck27kernel_gemm_xdl_cshuffle_v1INS_43GridwiseGemm_k0mk1_k0nk1_mn_xdl_cshuffle_v1INS_13tensor_layout4gemm8RowMajorENS3_11ColumnMajorES4_aaiaaNS_16tensor_operation12element_wise11PassThroughES8_S8_LNS6_6device18GemmSpecializationE0ELNS_25InMemoryDataOperationEnumE0ELi1ELi256ELi256ELi128ELi64ELi16ELi16ELi16ELi16ELi8ELi2ENS_8SequenceIJLi4ELi64ELi1EEEENSC_IJLi1ELi0ELi2EEEESE_Li2ELi16ELi16ELb0ELi1ESD_SE_SE_Li2ELi8ELi8ELb0ELi1ELi1ELi1ENSC_IJLi1ELi32ELi1ELi8EEEELi4ELNS_13LoopSchedulerE0ELNS_15PipelineVersionE0EaaEELb1EEEvNT_8ArgumentE,comdat
.Lfunc_end3:
	.size	_ZN2ck27kernel_gemm_xdl_cshuffle_v1INS_43GridwiseGemm_k0mk1_k0nk1_mn_xdl_cshuffle_v1INS_13tensor_layout4gemm8RowMajorENS3_11ColumnMajorES4_aaiaaNS_16tensor_operation12element_wise11PassThroughES8_S8_LNS6_6device18GemmSpecializationE0ELNS_25InMemoryDataOperationEnumE0ELi1ELi256ELi256ELi128ELi64ELi16ELi16ELi16ELi16ELi8ELi2ENS_8SequenceIJLi4ELi64ELi1EEEENSC_IJLi1ELi0ELi2EEEESE_Li2ELi16ELi16ELb0ELi1ESD_SE_SE_Li2ELi8ELi8ELb0ELi1ELi1ELi1ENSC_IJLi1ELi32ELi1ELi8EEEELi4ELNS_13LoopSchedulerE0ELNS_15PipelineVersionE0EaaEELb1EEEvNT_8ArgumentE, .Lfunc_end3-_ZN2ck27kernel_gemm_xdl_cshuffle_v1INS_43GridwiseGemm_k0mk1_k0nk1_mn_xdl_cshuffle_v1INS_13tensor_layout4gemm8RowMajorENS3_11ColumnMajorES4_aaiaaNS_16tensor_operation12element_wise11PassThroughES8_S8_LNS6_6device18GemmSpecializationE0ELNS_25InMemoryDataOperationEnumE0ELi1ELi256ELi256ELi128ELi64ELi16ELi16ELi16ELi16ELi8ELi2ENS_8SequenceIJLi4ELi64ELi1EEEENSC_IJLi1ELi0ELi2EEEESE_Li2ELi16ELi16ELb0ELi1ESD_SE_SE_Li2ELi8ELi8ELb0ELi1ELi1ELi1ENSC_IJLi1ELi32ELi1ELi8EEEELi4ELNS_13LoopSchedulerE0ELNS_15PipelineVersionE0EaaEELb1EEEvNT_8ArgumentE
                                        ; -- End function
	.set _ZN2ck27kernel_gemm_xdl_cshuffle_v1INS_43GridwiseGemm_k0mk1_k0nk1_mn_xdl_cshuffle_v1INS_13tensor_layout4gemm8RowMajorENS3_11ColumnMajorES4_aaiaaNS_16tensor_operation12element_wise11PassThroughES8_S8_LNS6_6device18GemmSpecializationE0ELNS_25InMemoryDataOperationEnumE0ELi1ELi256ELi256ELi128ELi64ELi16ELi16ELi16ELi16ELi8ELi2ENS_8SequenceIJLi4ELi64ELi1EEEENSC_IJLi1ELi0ELi2EEEESE_Li2ELi16ELi16ELb0ELi1ESD_SE_SE_Li2ELi8ELi8ELb0ELi1ELi1ELi1ENSC_IJLi1ELi32ELi1ELi8EEEELi4ELNS_13LoopSchedulerE0ELNS_15PipelineVersionE0EaaEELb1EEEvNT_8ArgumentE.num_vgpr, 187
	.set _ZN2ck27kernel_gemm_xdl_cshuffle_v1INS_43GridwiseGemm_k0mk1_k0nk1_mn_xdl_cshuffle_v1INS_13tensor_layout4gemm8RowMajorENS3_11ColumnMajorES4_aaiaaNS_16tensor_operation12element_wise11PassThroughES8_S8_LNS6_6device18GemmSpecializationE0ELNS_25InMemoryDataOperationEnumE0ELi1ELi256ELi256ELi128ELi64ELi16ELi16ELi16ELi16ELi8ELi2ENS_8SequenceIJLi4ELi64ELi1EEEENSC_IJLi1ELi0ELi2EEEESE_Li2ELi16ELi16ELb0ELi1ESD_SE_SE_Li2ELi8ELi8ELb0ELi1ELi1ELi1ENSC_IJLi1ELi32ELi1ELi8EEEELi4ELNS_13LoopSchedulerE0ELNS_15PipelineVersionE0EaaEELb1EEEvNT_8ArgumentE.num_agpr, 0
	.set _ZN2ck27kernel_gemm_xdl_cshuffle_v1INS_43GridwiseGemm_k0mk1_k0nk1_mn_xdl_cshuffle_v1INS_13tensor_layout4gemm8RowMajorENS3_11ColumnMajorES4_aaiaaNS_16tensor_operation12element_wise11PassThroughES8_S8_LNS6_6device18GemmSpecializationE0ELNS_25InMemoryDataOperationEnumE0ELi1ELi256ELi256ELi128ELi64ELi16ELi16ELi16ELi16ELi8ELi2ENS_8SequenceIJLi4ELi64ELi1EEEENSC_IJLi1ELi0ELi2EEEESE_Li2ELi16ELi16ELb0ELi1ESD_SE_SE_Li2ELi8ELi8ELb0ELi1ELi1ELi1ENSC_IJLi1ELi32ELi1ELi8EEEELi4ELNS_13LoopSchedulerE0ELNS_15PipelineVersionE0EaaEELb1EEEvNT_8ArgumentE.numbered_sgpr, 36
	.set _ZN2ck27kernel_gemm_xdl_cshuffle_v1INS_43GridwiseGemm_k0mk1_k0nk1_mn_xdl_cshuffle_v1INS_13tensor_layout4gemm8RowMajorENS3_11ColumnMajorES4_aaiaaNS_16tensor_operation12element_wise11PassThroughES8_S8_LNS6_6device18GemmSpecializationE0ELNS_25InMemoryDataOperationEnumE0ELi1ELi256ELi256ELi128ELi64ELi16ELi16ELi16ELi16ELi8ELi2ENS_8SequenceIJLi4ELi64ELi1EEEENSC_IJLi1ELi0ELi2EEEESE_Li2ELi16ELi16ELb0ELi1ESD_SE_SE_Li2ELi8ELi8ELb0ELi1ELi1ELi1ENSC_IJLi1ELi32ELi1ELi8EEEELi4ELNS_13LoopSchedulerE0ELNS_15PipelineVersionE0EaaEELb1EEEvNT_8ArgumentE.num_named_barrier, 0
	.set _ZN2ck27kernel_gemm_xdl_cshuffle_v1INS_43GridwiseGemm_k0mk1_k0nk1_mn_xdl_cshuffle_v1INS_13tensor_layout4gemm8RowMajorENS3_11ColumnMajorES4_aaiaaNS_16tensor_operation12element_wise11PassThroughES8_S8_LNS6_6device18GemmSpecializationE0ELNS_25InMemoryDataOperationEnumE0ELi1ELi256ELi256ELi128ELi64ELi16ELi16ELi16ELi16ELi8ELi2ENS_8SequenceIJLi4ELi64ELi1EEEENSC_IJLi1ELi0ELi2EEEESE_Li2ELi16ELi16ELb0ELi1ESD_SE_SE_Li2ELi8ELi8ELb0ELi1ELi1ELi1ENSC_IJLi1ELi32ELi1ELi8EEEELi4ELNS_13LoopSchedulerE0ELNS_15PipelineVersionE0EaaEELb1EEEvNT_8ArgumentE.private_seg_size, 0
	.set _ZN2ck27kernel_gemm_xdl_cshuffle_v1INS_43GridwiseGemm_k0mk1_k0nk1_mn_xdl_cshuffle_v1INS_13tensor_layout4gemm8RowMajorENS3_11ColumnMajorES4_aaiaaNS_16tensor_operation12element_wise11PassThroughES8_S8_LNS6_6device18GemmSpecializationE0ELNS_25InMemoryDataOperationEnumE0ELi1ELi256ELi256ELi128ELi64ELi16ELi16ELi16ELi16ELi8ELi2ENS_8SequenceIJLi4ELi64ELi1EEEENSC_IJLi1ELi0ELi2EEEESE_Li2ELi16ELi16ELb0ELi1ESD_SE_SE_Li2ELi8ELi8ELb0ELi1ELi1ELi1ENSC_IJLi1ELi32ELi1ELi8EEEELi4ELNS_13LoopSchedulerE0ELNS_15PipelineVersionE0EaaEELb1EEEvNT_8ArgumentE.uses_vcc, 0
	.set _ZN2ck27kernel_gemm_xdl_cshuffle_v1INS_43GridwiseGemm_k0mk1_k0nk1_mn_xdl_cshuffle_v1INS_13tensor_layout4gemm8RowMajorENS3_11ColumnMajorES4_aaiaaNS_16tensor_operation12element_wise11PassThroughES8_S8_LNS6_6device18GemmSpecializationE0ELNS_25InMemoryDataOperationEnumE0ELi1ELi256ELi256ELi128ELi64ELi16ELi16ELi16ELi16ELi8ELi2ENS_8SequenceIJLi4ELi64ELi1EEEENSC_IJLi1ELi0ELi2EEEESE_Li2ELi16ELi16ELb0ELi1ESD_SE_SE_Li2ELi8ELi8ELb0ELi1ELi1ELi1ENSC_IJLi1ELi32ELi1ELi8EEEELi4ELNS_13LoopSchedulerE0ELNS_15PipelineVersionE0EaaEELb1EEEvNT_8ArgumentE.uses_flat_scratch, 0
	.set _ZN2ck27kernel_gemm_xdl_cshuffle_v1INS_43GridwiseGemm_k0mk1_k0nk1_mn_xdl_cshuffle_v1INS_13tensor_layout4gemm8RowMajorENS3_11ColumnMajorES4_aaiaaNS_16tensor_operation12element_wise11PassThroughES8_S8_LNS6_6device18GemmSpecializationE0ELNS_25InMemoryDataOperationEnumE0ELi1ELi256ELi256ELi128ELi64ELi16ELi16ELi16ELi16ELi8ELi2ENS_8SequenceIJLi4ELi64ELi1EEEENSC_IJLi1ELi0ELi2EEEESE_Li2ELi16ELi16ELb0ELi1ESD_SE_SE_Li2ELi8ELi8ELb0ELi1ELi1ELi1ENSC_IJLi1ELi32ELi1ELi8EEEELi4ELNS_13LoopSchedulerE0ELNS_15PipelineVersionE0EaaEELb1EEEvNT_8ArgumentE.has_dyn_sized_stack, 0
	.set _ZN2ck27kernel_gemm_xdl_cshuffle_v1INS_43GridwiseGemm_k0mk1_k0nk1_mn_xdl_cshuffle_v1INS_13tensor_layout4gemm8RowMajorENS3_11ColumnMajorES4_aaiaaNS_16tensor_operation12element_wise11PassThroughES8_S8_LNS6_6device18GemmSpecializationE0ELNS_25InMemoryDataOperationEnumE0ELi1ELi256ELi256ELi128ELi64ELi16ELi16ELi16ELi16ELi8ELi2ENS_8SequenceIJLi4ELi64ELi1EEEENSC_IJLi1ELi0ELi2EEEESE_Li2ELi16ELi16ELb0ELi1ESD_SE_SE_Li2ELi8ELi8ELb0ELi1ELi1ELi1ENSC_IJLi1ELi32ELi1ELi8EEEELi4ELNS_13LoopSchedulerE0ELNS_15PipelineVersionE0EaaEELb1EEEvNT_8ArgumentE.has_recursion, 0
	.set _ZN2ck27kernel_gemm_xdl_cshuffle_v1INS_43GridwiseGemm_k0mk1_k0nk1_mn_xdl_cshuffle_v1INS_13tensor_layout4gemm8RowMajorENS3_11ColumnMajorES4_aaiaaNS_16tensor_operation12element_wise11PassThroughES8_S8_LNS6_6device18GemmSpecializationE0ELNS_25InMemoryDataOperationEnumE0ELi1ELi256ELi256ELi128ELi64ELi16ELi16ELi16ELi16ELi8ELi2ENS_8SequenceIJLi4ELi64ELi1EEEENSC_IJLi1ELi0ELi2EEEESE_Li2ELi16ELi16ELb0ELi1ESD_SE_SE_Li2ELi8ELi8ELb0ELi1ELi1ELi1ENSC_IJLi1ELi32ELi1ELi8EEEELi4ELNS_13LoopSchedulerE0ELNS_15PipelineVersionE0EaaEELb1EEEvNT_8ArgumentE.has_indirect_call, 0
	.section	.AMDGPU.csdata,"",@progbits
; Kernel info:
; codeLenInByte = 5564
; TotalNumSgprs: 36
; NumVgprs: 187
; ScratchSize: 0
; MemoryBound: 0
; FloatMode: 240
; IeeeMode: 1
; LDSByteSize: 24672 bytes/workgroup (compile time only)
; SGPRBlocks: 0
; VGPRBlocks: 23
; NumSGPRsForWavesPerEU: 36
; NumVGPRsForWavesPerEU: 187
; Occupancy: 8
; WaveLimiterHint : 0
; COMPUTE_PGM_RSRC2:SCRATCH_EN: 0
; COMPUTE_PGM_RSRC2:USER_SGPR: 2
; COMPUTE_PGM_RSRC2:TRAP_HANDLER: 0
; COMPUTE_PGM_RSRC2:TGID_X_EN: 1
; COMPUTE_PGM_RSRC2:TGID_Y_EN: 0
; COMPUTE_PGM_RSRC2:TGID_Z_EN: 0
; COMPUTE_PGM_RSRC2:TIDIG_COMP_CNT: 0
	.section	.text._ZN2ck27kernel_gemm_xdl_cshuffle_v1INS_43GridwiseGemm_k0mk1_k0nk1_mn_xdl_cshuffle_v1INS_13tensor_layout4gemm8RowMajorENS3_11ColumnMajorES4_aaiaaNS_16tensor_operation12element_wise11PassThroughES8_S8_LNS6_6device18GemmSpecializationE0ELNS_25InMemoryDataOperationEnumE0ELi1ELi256ELi256ELi128ELi64ELi16ELi16ELi16ELi16ELi8ELi2ENS_8SequenceIJLi4ELi64ELi1EEEENSC_IJLi1ELi0ELi2EEEESE_Li2ELi16ELi16ELb0ELi1ESD_SE_SE_Li2ELi8ELi8ELb0ELi1ELi1ELi1ENSC_IJLi1ELi32ELi1ELi8EEEELi4ELNS_13LoopSchedulerE0ELNS_15PipelineVersionE0EaaEELb0EEEvNT_8ArgumentE,"axG",@progbits,_ZN2ck27kernel_gemm_xdl_cshuffle_v1INS_43GridwiseGemm_k0mk1_k0nk1_mn_xdl_cshuffle_v1INS_13tensor_layout4gemm8RowMajorENS3_11ColumnMajorES4_aaiaaNS_16tensor_operation12element_wise11PassThroughES8_S8_LNS6_6device18GemmSpecializationE0ELNS_25InMemoryDataOperationEnumE0ELi1ELi256ELi256ELi128ELi64ELi16ELi16ELi16ELi16ELi8ELi2ENS_8SequenceIJLi4ELi64ELi1EEEENSC_IJLi1ELi0ELi2EEEESE_Li2ELi16ELi16ELb0ELi1ESD_SE_SE_Li2ELi8ELi8ELb0ELi1ELi1ELi1ENSC_IJLi1ELi32ELi1ELi8EEEELi4ELNS_13LoopSchedulerE0ELNS_15PipelineVersionE0EaaEELb0EEEvNT_8ArgumentE,comdat
	.protected	_ZN2ck27kernel_gemm_xdl_cshuffle_v1INS_43GridwiseGemm_k0mk1_k0nk1_mn_xdl_cshuffle_v1INS_13tensor_layout4gemm8RowMajorENS3_11ColumnMajorES4_aaiaaNS_16tensor_operation12element_wise11PassThroughES8_S8_LNS6_6device18GemmSpecializationE0ELNS_25InMemoryDataOperationEnumE0ELi1ELi256ELi256ELi128ELi64ELi16ELi16ELi16ELi16ELi8ELi2ENS_8SequenceIJLi4ELi64ELi1EEEENSC_IJLi1ELi0ELi2EEEESE_Li2ELi16ELi16ELb0ELi1ESD_SE_SE_Li2ELi8ELi8ELb0ELi1ELi1ELi1ENSC_IJLi1ELi32ELi1ELi8EEEELi4ELNS_13LoopSchedulerE0ELNS_15PipelineVersionE0EaaEELb0EEEvNT_8ArgumentE ; -- Begin function _ZN2ck27kernel_gemm_xdl_cshuffle_v1INS_43GridwiseGemm_k0mk1_k0nk1_mn_xdl_cshuffle_v1INS_13tensor_layout4gemm8RowMajorENS3_11ColumnMajorES4_aaiaaNS_16tensor_operation12element_wise11PassThroughES8_S8_LNS6_6device18GemmSpecializationE0ELNS_25InMemoryDataOperationEnumE0ELi1ELi256ELi256ELi128ELi64ELi16ELi16ELi16ELi16ELi8ELi2ENS_8SequenceIJLi4ELi64ELi1EEEENSC_IJLi1ELi0ELi2EEEESE_Li2ELi16ELi16ELb0ELi1ESD_SE_SE_Li2ELi8ELi8ELb0ELi1ELi1ELi1ENSC_IJLi1ELi32ELi1ELi8EEEELi4ELNS_13LoopSchedulerE0ELNS_15PipelineVersionE0EaaEELb0EEEvNT_8ArgumentE
	.globl	_ZN2ck27kernel_gemm_xdl_cshuffle_v1INS_43GridwiseGemm_k0mk1_k0nk1_mn_xdl_cshuffle_v1INS_13tensor_layout4gemm8RowMajorENS3_11ColumnMajorES4_aaiaaNS_16tensor_operation12element_wise11PassThroughES8_S8_LNS6_6device18GemmSpecializationE0ELNS_25InMemoryDataOperationEnumE0ELi1ELi256ELi256ELi128ELi64ELi16ELi16ELi16ELi16ELi8ELi2ENS_8SequenceIJLi4ELi64ELi1EEEENSC_IJLi1ELi0ELi2EEEESE_Li2ELi16ELi16ELb0ELi1ESD_SE_SE_Li2ELi8ELi8ELb0ELi1ELi1ELi1ENSC_IJLi1ELi32ELi1ELi8EEEELi4ELNS_13LoopSchedulerE0ELNS_15PipelineVersionE0EaaEELb0EEEvNT_8ArgumentE
	.p2align	8
	.type	_ZN2ck27kernel_gemm_xdl_cshuffle_v1INS_43GridwiseGemm_k0mk1_k0nk1_mn_xdl_cshuffle_v1INS_13tensor_layout4gemm8RowMajorENS3_11ColumnMajorES4_aaiaaNS_16tensor_operation12element_wise11PassThroughES8_S8_LNS6_6device18GemmSpecializationE0ELNS_25InMemoryDataOperationEnumE0ELi1ELi256ELi256ELi128ELi64ELi16ELi16ELi16ELi16ELi8ELi2ENS_8SequenceIJLi4ELi64ELi1EEEENSC_IJLi1ELi0ELi2EEEESE_Li2ELi16ELi16ELb0ELi1ESD_SE_SE_Li2ELi8ELi8ELb0ELi1ELi1ELi1ENSC_IJLi1ELi32ELi1ELi8EEEELi4ELNS_13LoopSchedulerE0ELNS_15PipelineVersionE0EaaEELb0EEEvNT_8ArgumentE,@function
_ZN2ck27kernel_gemm_xdl_cshuffle_v1INS_43GridwiseGemm_k0mk1_k0nk1_mn_xdl_cshuffle_v1INS_13tensor_layout4gemm8RowMajorENS3_11ColumnMajorES4_aaiaaNS_16tensor_operation12element_wise11PassThroughES8_S8_LNS6_6device18GemmSpecializationE0ELNS_25InMemoryDataOperationEnumE0ELi1ELi256ELi256ELi128ELi64ELi16ELi16ELi16ELi16ELi8ELi2ENS_8SequenceIJLi4ELi64ELi1EEEENSC_IJLi1ELi0ELi2EEEESE_Li2ELi16ELi16ELb0ELi1ESD_SE_SE_Li2ELi8ELi8ELb0ELi1ELi1ELi1ENSC_IJLi1ELi32ELi1ELi8EEEELi4ELNS_13LoopSchedulerE0ELNS_15PipelineVersionE0EaaEELb0EEEvNT_8ArgumentE: ; @_ZN2ck27kernel_gemm_xdl_cshuffle_v1INS_43GridwiseGemm_k0mk1_k0nk1_mn_xdl_cshuffle_v1INS_13tensor_layout4gemm8RowMajorENS3_11ColumnMajorES4_aaiaaNS_16tensor_operation12element_wise11PassThroughES8_S8_LNS6_6device18GemmSpecializationE0ELNS_25InMemoryDataOperationEnumE0ELi1ELi256ELi256ELi128ELi64ELi16ELi16ELi16ELi16ELi8ELi2ENS_8SequenceIJLi4ELi64ELi1EEEENSC_IJLi1ELi0ELi2EEEESE_Li2ELi16ELi16ELb0ELi1ESD_SE_SE_Li2ELi8ELi8ELb0ELi1ELi1ELi1ENSC_IJLi1ELi32ELi1ELi8EEEELi4ELNS_13LoopSchedulerE0ELNS_15PipelineVersionE0EaaEELb0EEEvNT_8ArgumentE
; %bb.0:
	s_clause 0x1
	s_load_b128 s[4:7], s[0:1], 0x10
	s_load_b64 s[16:17], s[0:1], 0x20
	s_abs_i32 s11, ttmp9
	v_and_b32_e32 v25, 0xfc, v0
	v_and_b32_e32 v26, 3, v0
	v_lshrrev_b32_e32 v27, 1, v0
	s_mov_b32 s19, 0
	v_lshrrev_b32_e32 v90, 3, v0
	s_mov_b32 s20, s19
	s_mov_b32 s24, s19
	v_and_b32_e32 v28, 0x7e, v27
	v_and_b32_e32 v29, 15, v0
	v_lshlrev_b32_e32 v30, 3, v0
	v_and_b32_e32 v31, 16, v90
	v_and_b32_e32 v0, 2, v90
	v_mul_u32_u24_e32 v33, 0x810, v26
	v_lshlrev_b32_e32 v32, 4, v29
	v_and_b32_e32 v91, 56, v30
	v_or_b32_e32 v34, v31, v29
	v_mul_u32_u24_e32 v35, 0x1010, v0
	s_wait_kmcnt 0x0
	s_add_co_i32 s2, s4, 0xff
	s_add_co_i32 s3, s5, 0x7f
	s_ashr_i32 s8, s2, 31
	s_ashr_i32 s9, s3, 31
	s_lshr_b32 s8, s8, 24
	s_lshr_b32 s9, s9, 25
	s_add_co_i32 s2, s2, s8
	s_add_co_i32 s3, s3, s9
	s_ashr_i32 s2, s2, 8
	s_ashr_i32 s8, s3, 7
	s_add_co_i32 s21, s5, -1
	s_mul_i32 s3, s8, s2
	s_mov_b32 s25, s6
	s_abs_i32 s9, s3
	v_and_or_b32 v32, 0x300, v30, v32
	s_cvt_f32_u32 s3, s9
	s_sub_co_i32 s10, 0, s9
	v_lshl_add_u32 v84, v34, 4, v35
	v_lshl_or_b32 v92, v90, 6, v91
	v_rcp_iflag_f32_e32 v1, s3
	v_mad_u32_u24 v32, 0x810, v0, v32
	s_mov_b32 s6, s19
	s_delay_alu instid0(TRANS32_DEP_1) | instskip(SKIP_2) | instid1(SALU_CYCLE_2)
	v_readfirstlane_b32 s3, v1
	s_mul_f32 s3, s3, 0x4f7ffffe
	s_wait_alu 0xfffe
	s_cvt_u32_f32 s3, s3
	s_wait_alu 0xfffe
	s_delay_alu instid0(SALU_CYCLE_2) | instskip(NEXT) | instid1(SALU_CYCLE_1)
	s_mul_i32 s10, s10, s3
	s_mul_hi_u32 s10, s3, s10
	s_delay_alu instid0(SALU_CYCLE_1)
	s_add_co_i32 s3, s3, s10
	s_ashr_i32 s10, ttmp9, 31
	s_wait_alu 0xfffe
	s_mul_hi_u32 s3, s11, s3
	s_wait_alu 0xfffe
	s_mul_i32 s12, s3, s9
	s_add_co_i32 s3, s4, -1
	s_sub_co_i32 s4, s11, s12
	s_delay_alu instid0(SALU_CYCLE_1) | instskip(SKIP_2) | instid1(SALU_CYCLE_1)
	s_sub_co_i32 s11, s4, s9
	s_cmp_ge_u32 s4, s9
	s_cselect_b32 s4, s11, s4
	s_sub_co_i32 s11, s4, s9
	s_cmp_ge_u32 s4, s9
	s_cselect_b32 s4, s11, s4
	s_abs_i32 s9, s8
	s_xor_b32 s4, s4, s10
	s_cvt_f32_u32 s11, s9
	s_sub_co_i32 s12, 0, s9
	s_sub_co_i32 s4, s4, s10
	s_delay_alu instid0(SALU_CYCLE_1) | instskip(NEXT) | instid1(TRANS32_DEP_1)
	v_rcp_iflag_f32_e32 v1, s11
	v_readfirstlane_b32 s11, v1
	s_mul_f32 s11, s11, 0x4f7ffffe
	s_wait_alu 0xfffe
	s_delay_alu instid0(SALU_CYCLE_2) | instskip(SKIP_1) | instid1(SALU_CYCLE_2)
	s_cvt_u32_f32 s11, s11
	s_wait_alu 0xfffe
	s_mul_i32 s12, s12, s11
	s_delay_alu instid0(SALU_CYCLE_1)
	s_mul_hi_u32 s10, s11, s12
	s_abs_i32 s12, s4
	s_wait_alu 0xfffe
	s_add_co_i32 s11, s11, s10
	s_wait_alu 0xfffe
	s_mul_hi_u32 s10, s12, s11
	s_xor_b32 s11, s4, s8
	s_wait_alu 0xfffe
	s_mul_i32 s13, s10, s9
	s_ashr_i32 s11, s11, 31
	s_sub_co_i32 s12, s12, s13
	s_add_co_i32 s13, s10, 1
	s_sub_co_i32 s14, s12, s9
	s_cmp_ge_u32 s12, s9
	s_cselect_b32 s10, s13, s10
	s_cselect_b32 s12, s14, s12
	s_wait_alu 0xfffe
	s_add_co_i32 s13, s10, 1
	s_cmp_ge_u32 s12, s9
	s_cselect_b32 s9, s13, s10
	s_lshr_b32 s10, s2, 29
	s_xor_b32 s9, s9, s11
	s_wait_alu 0xfffe
	s_add_co_i32 s10, s2, s10
	s_sub_co_i32 s9, s9, s11
	s_wait_alu 0xfffe
	s_and_b32 s10, s10, -8
	s_mul_i32 s13, s9, s8
	s_wait_alu 0xfffe
	s_sub_co_i32 s2, s2, s10
	s_cmp_ge_i32 s9, s10
	s_wait_alu 0xfffe
	s_cselect_b32 s2, s2, 8
	s_ashr_i32 s12, s9, 31
	s_wait_alu 0xfffe
	s_abs_i32 s10, s2
	s_lshr_b32 s12, s12, 29
	s_wait_alu 0xfffe
	s_cvt_f32_u32 s11, s10
	s_add_co_i32 s12, s9, s12
	s_sub_co_i32 s4, s4, s13
	s_and_b32 s22, s12, -8
	s_wait_alu 0xfffe
	v_rcp_iflag_f32_e32 v1, s11
	s_sub_co_i32 s9, s9, s22
	s_sub_co_i32 s12, 0, s10
	s_mul_i32 s8, s9, s8
	s_delay_alu instid0(SALU_CYCLE_1) | instskip(NEXT) | instid1(SALU_CYCLE_1)
	s_add_co_i32 s8, s8, s4
	s_abs_i32 s9, s8
	s_delay_alu instid0(TRANS32_DEP_1) | instskip(SKIP_3) | instid1(SALU_CYCLE_2)
	v_readfirstlane_b32 s11, v1
	v_lshlrev_b32_e32 v1, 4, v26
	s_mul_f32 s11, s11, 0x4f7ffffe
	s_wait_alu 0xfffe
	s_cvt_u32_f32 s11, s11
	s_wait_alu 0xfffe
	s_delay_alu instid0(SALU_CYCLE_2) | instskip(NEXT) | instid1(SALU_CYCLE_1)
	s_mul_i32 s12, s12, s11
	s_mul_hi_u32 s4, s11, s12
	s_delay_alu instid0(SALU_CYCLE_1)
	s_add_co_i32 s11, s11, s4
	s_wait_alu 0xfffe
	s_mul_hi_u32 s4, s9, s11
	s_xor_b32 s11, s8, s2
	s_mul_i32 s12, s4, s10
	s_wait_alu 0xfffe
	s_ashr_i32 s18, s11, 31
	s_sub_co_i32 s9, s9, s12
	s_add_co_i32 s11, s4, 1
	s_sub_co_i32 s12, s9, s10
	s_cmp_ge_u32 s9, s10
	s_wait_alu 0xfffe
	s_cselect_b32 s4, s11, s4
	s_cselect_b32 s9, s12, s9
	s_add_co_i32 s12, s4, 1
	s_cmp_ge_u32 s9, s10
	s_mov_b32 s11, 0x31004000
	s_cselect_b32 s4, s12, s4
	s_load_b128 s[12:15], s[0:1], 0x48
	s_xor_b32 s4, s4, s18
	s_load_b64 s[0:1], s[0:1], 0x58
	s_sub_co_i32 s4, s4, s18
	s_mov_b32 s18, s7
	s_mul_i32 s2, s4, s2
	s_wait_alu 0xfffe
	s_sub_co_i32 s2, s8, s2
	s_wait_alu 0xfffe
	s_add_co_i32 s22, s22, s2
	s_mov_b32 s2, s19
	v_lshl_or_b32 v2, s22, 8, v25
	s_wait_alu 0xfffe
	s_mul_u64 s[26:27], s[2:3], s[18:19]
	s_mov_b32 s18, s16
	s_add_nc_u64 s[26:27], s[26:27], s[24:25]
	s_mul_u64 s[20:21], s[20:21], s[18:19]
	v_mad_co_u64_u32 v[2:3], null, v2, s7, v[1:2]
	v_lshl_or_b32 v3, s4, 7, v28
	s_mov_b32 s10, s27
	s_wait_kmcnt 0x0
	s_mov_b32 s8, s12
	s_add_nc_u64 s[20:21], s[20:21], s[24:25]
	s_and_b32 s9, s13, 0xffff
	v_lshlrev_b32_e32 v25, 4, v25
	v_mad_co_u64_u32 v[17:18], null, v3, s16, v[1:2]
	v_add_nc_u32_e32 v5, s7, v2
	s_mov_b32 s18, s17
	s_delay_alu instid0(VALU_DEP_3)
	v_mad_u32_u24 v25, 0x1010, v26, v25
	v_lshl_add_u32 v26, v28, 4, v33
	s_mul_u64 s[2:3], s[2:3], s[18:19]
	v_add_nc_u32_e32 v9, s7, v5
	v_add_nc_u32_e32 v18, s16, v17
	s_and_b32 s1, s1, 0xffff
	s_delay_alu instid0(VALU_DEP_2) | instskip(NEXT) | instid1(VALU_DEP_2)
	v_add_nc_u32_e32 v13, s7, v9
	v_add_nc_u32_e32 v19, 8, v18
	s_clause 0x3
	buffer_load_b128 v[1:4], v2, s[8:11], null offen
	buffer_load_b128 v[5:8], v5, s[8:11], null offen
	;; [unrolled: 1-line block ×4, first 2 shown]
	s_and_b32 s9, s15, 0xffff
	s_mov_b32 s8, s14
	s_mov_b32 s10, s21
	s_clause 0x2
	buffer_load_b64 v[19:20], v19, s[8:11], null offen
	buffer_load_b128 v[21:24], v17, s[8:11], null offen
	buffer_load_b64 v[17:18], v18, s[8:11], null offen
	s_mov_b32 s7, s5
	s_wait_loadcnt 0x6
	ds_store_b128 v25, v[1:4]
	s_wait_loadcnt 0x5
	ds_store_b128 v25, v[5:8] offset:16
	s_wait_loadcnt 0x4
	ds_store_b128 v25, v[9:12] offset:32
	;; [unrolled: 2-line block ×5, first 2 shown]
	s_wait_dscnt 0x0
	s_barrier_signal -1
	s_barrier_wait -1
	ds_load_b128 v[12:15], v84
	ds_load_b128 v[0:3], v32 offset:16432
	v_and_or_b32 v4, v27, 8, v31
	ds_load_b128 v[16:19], v84 offset:4112
	ds_load_b128 v[20:23], v32 offset:18496
	v_and_b32_e32 v5, 48, v27
	v_lshlrev_b32_e32 v4, 6, v4
	s_delay_alu instid0(VALU_DEP_1)
	v_or3_b32 v93, v5, v4, v29
	ds_load_b128 v[24:27], v32 offset:17456
	ds_load_b128 v[28:31], v84 offset:512
	;; [unrolled: 1-line block ×16, first 2 shown]
	s_wait_dscnt 0x0
	s_barrier_signal -1
	s_barrier_wait -1
	v_wmma_i32_16x16x16_iu8 v[4:11], v[12:13], v[0:1], 0 neg_lo:[1,1,0]
	s_delay_alu instid0(VALU_DEP_1) | instskip(NEXT) | instid1(VALU_DEP_1)
	v_wmma_i32_16x16x16_iu8 v[4:11], v[14:15], v[2:3], v[4:11] neg_lo:[1,1,0]
	v_wmma_i32_16x16x16_iu8 v[4:11], v[16:17], v[20:21], v[4:11] neg_lo:[1,1,0]
	s_delay_alu instid0(VALU_DEP_1)
	v_wmma_i32_16x16x16_iu8 v[4:11], v[18:19], v[22:23], v[4:11] neg_lo:[1,1,0]
	ds_store_b8 v93, v4
	ds_store_b8 v93, v5 offset:64
	ds_store_b8 v93, v6 offset:128
	;; [unrolled: 1-line block ×7, first 2 shown]
	s_wait_dscnt 0x0
	s_barrier_signal -1
	s_barrier_wait -1
	ds_load_b64 v[88:89], v92
	v_wmma_i32_16x16x16_iu8 v[4:11], v[12:13], v[24:25], 0 neg_lo:[1,1,0]
	v_lshl_or_b32 v12, s4, 7, v91
	v_lshl_or_b32 v13, s22, 8, v90
	s_wait_alu 0xfffe
	s_add_nc_u64 s[4:5], s[2:3], s[6:7]
	v_wmma_i32_16x16x16_iu8 v[4:11], v[14:15], v[26:27], v[4:11] neg_lo:[1,1,0]
	s_mov_b32 s3, s11
	s_wait_alu 0xfffe
	s_mov_b32 s2, s5
	v_mad_co_u64_u32 v[12:13], null, v13, s17, v[12:13]
	v_wmma_i32_16x16x16_iu8 v[4:11], v[16:17], v[32:33], v[4:11] neg_lo:[1,1,0]
	s_lshl_b32 s4, s17, 5
	s_delay_alu instid0(VALU_DEP_1) | instskip(SKIP_1) | instid1(VALU_DEP_3)
	v_wmma_i32_16x16x16_iu8 v[4:11], v[18:19], v[34:35], v[4:11] neg_lo:[1,1,0]
	s_wait_alu 0xfffe
	v_add_nc_u32_e32 v15, s4, v12
	s_wait_dscnt 0x0
	buffer_store_b64 v[88:89], v12, s[0:3], null offen
	s_wait_dscnt 0x0
	s_barrier_signal -1
	s_barrier_wait -1
	ds_store_b8 v93, v4
	ds_store_b8 v93, v5 offset:64
	ds_store_b8 v93, v6 offset:128
	;; [unrolled: 1-line block ×7, first 2 shown]
	s_wait_dscnt 0x0
	s_barrier_signal -1
	s_barrier_wait -1
	ds_load_b64 v[13:14], v92
	v_wmma_i32_16x16x16_iu8 v[4:11], v[28:29], v[24:25], 0 neg_lo:[1,1,0]
	s_delay_alu instid0(VALU_DEP_1) | instskip(NEXT) | instid1(VALU_DEP_1)
	v_wmma_i32_16x16x16_iu8 v[4:11], v[30:31], v[26:27], v[4:11] neg_lo:[1,1,0]
	v_wmma_i32_16x16x16_iu8 v[4:11], v[36:37], v[32:33], v[4:11] neg_lo:[1,1,0]
	s_delay_alu instid0(VALU_DEP_1)
	v_wmma_i32_16x16x16_iu8 v[4:11], v[38:39], v[34:35], v[4:11] neg_lo:[1,1,0]
	s_wait_dscnt 0x0
	buffer_store_b64 v[13:14], v12, s[0:3], null offen offset:64
	s_wait_dscnt 0x0
	s_barrier_signal -1
	s_barrier_wait -1
	ds_store_b8 v93, v4
	ds_store_b8 v93, v5 offset:64
	ds_store_b8 v93, v6 offset:128
	ds_store_b8 v93, v7 offset:192
	ds_store_b8 v93, v8 offset:256
	ds_store_b8 v93, v9 offset:320
	ds_store_b8 v93, v10 offset:384
	ds_store_b8 v93, v11 offset:448
	s_wait_dscnt 0x0
	s_barrier_signal -1
	s_barrier_wait -1
	ds_load_b64 v[13:14], v92
	v_wmma_i32_16x16x16_iu8 v[4:11], v[28:29], v[0:1], 0 neg_lo:[1,1,0]
	v_add_nc_u32_e32 v12, 64, v15
	s_delay_alu instid0(VALU_DEP_2) | instskip(NEXT) | instid1(VALU_DEP_1)
	v_wmma_i32_16x16x16_iu8 v[4:11], v[30:31], v[2:3], v[4:11] neg_lo:[1,1,0]
	v_wmma_i32_16x16x16_iu8 v[4:11], v[36:37], v[20:21], v[4:11] neg_lo:[1,1,0]
	s_delay_alu instid0(VALU_DEP_1)
	v_wmma_i32_16x16x16_iu8 v[4:11], v[38:39], v[22:23], v[4:11] neg_lo:[1,1,0]
	s_wait_dscnt 0x0
	buffer_store_b64 v[13:14], v12, s[0:3], null offen
	s_wait_dscnt 0x0
	s_barrier_signal -1
	s_barrier_wait -1
	ds_store_b8 v93, v4
	ds_store_b8 v93, v5 offset:64
	ds_store_b8 v93, v6 offset:128
	;; [unrolled: 1-line block ×7, first 2 shown]
	s_wait_dscnt 0x0
	s_barrier_signal -1
	s_barrier_wait -1
	ds_load_b64 v[12:13], v92
	v_wmma_i32_16x16x16_iu8 v[4:11], v[40:41], v[0:1], 0 neg_lo:[1,1,0]
	v_add_nc_u32_e32 v14, s4, v15
	s_delay_alu instid0(VALU_DEP_2) | instskip(NEXT) | instid1(VALU_DEP_1)
	v_wmma_i32_16x16x16_iu8 v[4:11], v[42:43], v[2:3], v[4:11] neg_lo:[1,1,0]
	v_wmma_i32_16x16x16_iu8 v[4:11], v[48:49], v[20:21], v[4:11] neg_lo:[1,1,0]
	s_delay_alu instid0(VALU_DEP_1)
	v_wmma_i32_16x16x16_iu8 v[4:11], v[50:51], v[22:23], v[4:11] neg_lo:[1,1,0]
	s_wait_dscnt 0x0
	buffer_store_b64 v[12:13], v15, s[0:3], null offen
	s_wait_dscnt 0x0
	s_barrier_signal -1
	s_barrier_wait -1
	ds_store_b8 v93, v4
	ds_store_b8 v93, v5 offset:64
	ds_store_b8 v93, v6 offset:128
	;; [unrolled: 1-line block ×7, first 2 shown]
	s_wait_dscnt 0x0
	s_barrier_signal -1
	s_barrier_wait -1
	ds_load_b64 v[12:13], v92
	v_wmma_i32_16x16x16_iu8 v[4:11], v[40:41], v[24:25], 0 neg_lo:[1,1,0]
	s_delay_alu instid0(VALU_DEP_1) | instskip(NEXT) | instid1(VALU_DEP_1)
	v_wmma_i32_16x16x16_iu8 v[4:11], v[42:43], v[26:27], v[4:11] neg_lo:[1,1,0]
	v_wmma_i32_16x16x16_iu8 v[4:11], v[48:49], v[32:33], v[4:11] neg_lo:[1,1,0]
	s_delay_alu instid0(VALU_DEP_1)
	v_wmma_i32_16x16x16_iu8 v[4:11], v[50:51], v[34:35], v[4:11] neg_lo:[1,1,0]
	s_wait_dscnt 0x0
	buffer_store_b64 v[12:13], v14, s[0:3], null offen
	s_wait_dscnt 0x0
	s_barrier_signal -1
	s_barrier_wait -1
	ds_store_b8 v93, v4
	ds_store_b8 v93, v5 offset:64
	ds_store_b8 v93, v6 offset:128
	;; [unrolled: 1-line block ×7, first 2 shown]
	s_wait_dscnt 0x0
	s_barrier_signal -1
	s_barrier_wait -1
	ds_load_b64 v[12:13], v92
	v_wmma_i32_16x16x16_iu8 v[4:11], v[44:45], v[24:25], 0 neg_lo:[1,1,0]
	s_delay_alu instid0(VALU_DEP_1) | instskip(NEXT) | instid1(VALU_DEP_1)
	v_wmma_i32_16x16x16_iu8 v[4:11], v[46:47], v[26:27], v[4:11] neg_lo:[1,1,0]
	v_wmma_i32_16x16x16_iu8 v[4:11], v[52:53], v[32:33], v[4:11] neg_lo:[1,1,0]
	s_delay_alu instid0(VALU_DEP_1)
	v_wmma_i32_16x16x16_iu8 v[4:11], v[54:55], v[34:35], v[4:11] neg_lo:[1,1,0]
	s_wait_dscnt 0x0
	buffer_store_b64 v[12:13], v14, s[0:3], null offen offset:64
	s_wait_dscnt 0x0
	s_barrier_signal -1
	s_barrier_wait -1
	ds_store_b8 v93, v4
	ds_store_b8 v93, v5 offset:64
	ds_store_b8 v93, v6 offset:128
	;; [unrolled: 1-line block ×7, first 2 shown]
	s_wait_dscnt 0x0
	s_barrier_signal -1
	s_barrier_wait -1
	ds_load_b64 v[12:13], v92
	v_wmma_i32_16x16x16_iu8 v[4:11], v[44:45], v[0:1], 0 neg_lo:[1,1,0]
	v_add_nc_u32_e32 v14, s4, v14
	s_delay_alu instid0(VALU_DEP_2) | instskip(NEXT) | instid1(VALU_DEP_2)
	v_wmma_i32_16x16x16_iu8 v[4:11], v[46:47], v[2:3], v[4:11] neg_lo:[1,1,0]
	v_add_nc_u32_e32 v15, 64, v14
	s_delay_alu instid0(VALU_DEP_2) | instskip(NEXT) | instid1(VALU_DEP_1)
	v_wmma_i32_16x16x16_iu8 v[4:11], v[52:53], v[20:21], v[4:11] neg_lo:[1,1,0]
	v_wmma_i32_16x16x16_iu8 v[4:11], v[54:55], v[22:23], v[4:11] neg_lo:[1,1,0]
	s_wait_dscnt 0x0
	buffer_store_b64 v[12:13], v15, s[0:3], null offen
	s_wait_dscnt 0x0
	s_barrier_signal -1
	s_barrier_wait -1
	ds_store_b8 v93, v4
	ds_store_b8 v93, v5 offset:64
	ds_store_b8 v93, v6 offset:128
	;; [unrolled: 1-line block ×7, first 2 shown]
	s_wait_dscnt 0x0
	s_barrier_signal -1
	s_barrier_wait -1
	ds_load_b64 v[12:13], v92
	v_wmma_i32_16x16x16_iu8 v[4:11], v[56:57], v[0:1], 0 neg_lo:[1,1,0]
	s_delay_alu instid0(VALU_DEP_1) | instskip(NEXT) | instid1(VALU_DEP_1)
	v_wmma_i32_16x16x16_iu8 v[4:11], v[58:59], v[2:3], v[4:11] neg_lo:[1,1,0]
	v_wmma_i32_16x16x16_iu8 v[4:11], v[64:65], v[20:21], v[4:11] neg_lo:[1,1,0]
	s_delay_alu instid0(VALU_DEP_1)
	v_wmma_i32_16x16x16_iu8 v[4:11], v[66:67], v[22:23], v[4:11] neg_lo:[1,1,0]
	s_wait_dscnt 0x0
	buffer_store_b64 v[12:13], v14, s[0:3], null offen
	s_wait_dscnt 0x0
	s_barrier_signal -1
	s_barrier_wait -1
	ds_store_b8 v93, v4
	ds_store_b8 v93, v5 offset:64
	ds_store_b8 v93, v6 offset:128
	;; [unrolled: 1-line block ×7, first 2 shown]
	s_wait_dscnt 0x0
	s_barrier_signal -1
	s_barrier_wait -1
	ds_load_b64 v[12:13], v92
	v_wmma_i32_16x16x16_iu8 v[4:11], v[56:57], v[24:25], 0 neg_lo:[1,1,0]
	v_add_nc_u32_e32 v14, s4, v14
	s_delay_alu instid0(VALU_DEP_2) | instskip(NEXT) | instid1(VALU_DEP_1)
	v_wmma_i32_16x16x16_iu8 v[4:11], v[58:59], v[26:27], v[4:11] neg_lo:[1,1,0]
	v_wmma_i32_16x16x16_iu8 v[4:11], v[64:65], v[32:33], v[4:11] neg_lo:[1,1,0]
	s_delay_alu instid0(VALU_DEP_1)
	v_wmma_i32_16x16x16_iu8 v[4:11], v[66:67], v[34:35], v[4:11] neg_lo:[1,1,0]
	s_wait_dscnt 0x0
	buffer_store_b64 v[12:13], v14, s[0:3], null offen
	s_wait_dscnt 0x0
	s_barrier_signal -1
	s_barrier_wait -1
	ds_store_b8 v93, v4
	ds_store_b8 v93, v5 offset:64
	ds_store_b8 v93, v6 offset:128
	;; [unrolled: 1-line block ×7, first 2 shown]
	s_wait_dscnt 0x0
	s_barrier_signal -1
	s_barrier_wait -1
	ds_load_b64 v[12:13], v92
	v_wmma_i32_16x16x16_iu8 v[4:11], v[60:61], v[24:25], 0 neg_lo:[1,1,0]
	s_delay_alu instid0(VALU_DEP_1) | instskip(NEXT) | instid1(VALU_DEP_1)
	v_wmma_i32_16x16x16_iu8 v[4:11], v[62:63], v[26:27], v[4:11] neg_lo:[1,1,0]
	v_wmma_i32_16x16x16_iu8 v[4:11], v[68:69], v[32:33], v[4:11] neg_lo:[1,1,0]
	s_delay_alu instid0(VALU_DEP_1)
	v_wmma_i32_16x16x16_iu8 v[4:11], v[70:71], v[34:35], v[4:11] neg_lo:[1,1,0]
	s_wait_dscnt 0x0
	buffer_store_b64 v[12:13], v14, s[0:3], null offen offset:64
	s_wait_dscnt 0x0
	s_barrier_signal -1
	s_barrier_wait -1
	ds_store_b8 v93, v4
	ds_store_b8 v93, v5 offset:64
	ds_store_b8 v93, v6 offset:128
	;; [unrolled: 1-line block ×7, first 2 shown]
	s_wait_dscnt 0x0
	s_barrier_signal -1
	s_barrier_wait -1
	ds_load_b64 v[12:13], v92
	v_wmma_i32_16x16x16_iu8 v[4:11], v[60:61], v[0:1], 0 neg_lo:[1,1,0]
	v_add_nc_u32_e32 v14, s4, v14
	s_delay_alu instid0(VALU_DEP_2) | instskip(NEXT) | instid1(VALU_DEP_2)
	v_wmma_i32_16x16x16_iu8 v[4:11], v[62:63], v[2:3], v[4:11] neg_lo:[1,1,0]
	v_add_nc_u32_e32 v15, 64, v14
	s_delay_alu instid0(VALU_DEP_2) | instskip(NEXT) | instid1(VALU_DEP_1)
	v_wmma_i32_16x16x16_iu8 v[4:11], v[68:69], v[20:21], v[4:11] neg_lo:[1,1,0]
	v_wmma_i32_16x16x16_iu8 v[4:11], v[70:71], v[22:23], v[4:11] neg_lo:[1,1,0]
	s_wait_dscnt 0x0
	buffer_store_b64 v[12:13], v15, s[0:3], null offen
	s_wait_dscnt 0x0
	s_barrier_signal -1
	s_barrier_wait -1
	ds_store_b8 v93, v4
	ds_store_b8 v93, v5 offset:64
	ds_store_b8 v93, v6 offset:128
	;; [unrolled: 1-line block ×7, first 2 shown]
	s_wait_dscnt 0x0
	s_barrier_signal -1
	s_barrier_wait -1
	ds_load_b64 v[12:13], v92
	v_wmma_i32_16x16x16_iu8 v[4:11], v[72:73], v[0:1], 0 neg_lo:[1,1,0]
	s_delay_alu instid0(VALU_DEP_1) | instskip(NEXT) | instid1(VALU_DEP_1)
	v_wmma_i32_16x16x16_iu8 v[4:11], v[74:75], v[2:3], v[4:11] neg_lo:[1,1,0]
	v_wmma_i32_16x16x16_iu8 v[4:11], v[80:81], v[20:21], v[4:11] neg_lo:[1,1,0]
	s_delay_alu instid0(VALU_DEP_1)
	v_wmma_i32_16x16x16_iu8 v[4:11], v[82:83], v[22:23], v[4:11] neg_lo:[1,1,0]
	s_wait_dscnt 0x0
	buffer_store_b64 v[12:13], v14, s[0:3], null offen
	s_wait_dscnt 0x0
	s_barrier_signal -1
	s_barrier_wait -1
	ds_store_b8 v93, v4
	ds_store_b8 v93, v5 offset:64
	ds_store_b8 v93, v6 offset:128
	;; [unrolled: 1-line block ×7, first 2 shown]
	s_wait_dscnt 0x0
	s_barrier_signal -1
	s_barrier_wait -1
	ds_load_b64 v[12:13], v92
	v_wmma_i32_16x16x16_iu8 v[4:11], v[72:73], v[24:25], 0 neg_lo:[1,1,0]
	v_add_nc_u32_e32 v14, s4, v14
	s_delay_alu instid0(VALU_DEP_2) | instskip(NEXT) | instid1(VALU_DEP_1)
	v_wmma_i32_16x16x16_iu8 v[4:11], v[74:75], v[26:27], v[4:11] neg_lo:[1,1,0]
	v_wmma_i32_16x16x16_iu8 v[4:11], v[80:81], v[32:33], v[4:11] neg_lo:[1,1,0]
	s_delay_alu instid0(VALU_DEP_1)
	v_wmma_i32_16x16x16_iu8 v[4:11], v[82:83], v[34:35], v[4:11] neg_lo:[1,1,0]
	s_wait_dscnt 0x0
	buffer_store_b64 v[12:13], v14, s[0:3], null offen
	s_wait_dscnt 0x0
	s_barrier_signal -1
	s_barrier_wait -1
	ds_store_b8 v93, v4
	ds_store_b8 v93, v5 offset:64
	ds_store_b8 v93, v6 offset:128
	;; [unrolled: 1-line block ×7, first 2 shown]
	s_wait_dscnt 0x0
	s_barrier_signal -1
	s_barrier_wait -1
	ds_load_b64 v[12:13], v92
	v_wmma_i32_16x16x16_iu8 v[4:11], v[76:77], v[24:25], 0 neg_lo:[1,1,0]
	s_delay_alu instid0(VALU_DEP_1) | instskip(NEXT) | instid1(VALU_DEP_1)
	v_wmma_i32_16x16x16_iu8 v[4:11], v[78:79], v[26:27], v[4:11] neg_lo:[1,1,0]
	v_wmma_i32_16x16x16_iu8 v[4:11], v[84:85], v[32:33], v[4:11] neg_lo:[1,1,0]
	s_delay_alu instid0(VALU_DEP_1)
	v_wmma_i32_16x16x16_iu8 v[4:11], v[86:87], v[34:35], v[4:11] neg_lo:[1,1,0]
	s_wait_dscnt 0x0
	buffer_store_b64 v[12:13], v14, s[0:3], null offen offset:64
	s_wait_dscnt 0x0
	s_barrier_signal -1
	s_barrier_wait -1
	ds_store_b8 v93, v4
	ds_store_b8 v93, v5 offset:64
	ds_store_b8 v93, v6 offset:128
	;; [unrolled: 1-line block ×7, first 2 shown]
	s_wait_dscnt 0x0
	s_barrier_signal -1
	s_barrier_wait -1
	ds_load_b64 v[12:13], v92
	v_wmma_i32_16x16x16_iu8 v[4:11], v[76:77], v[0:1], 0 neg_lo:[1,1,0]
	s_delay_alu instid0(VALU_DEP_1) | instskip(SKIP_1) | instid1(VALU_DEP_2)
	v_wmma_i32_16x16x16_iu8 v[4:11], v[78:79], v[2:3], v[4:11] neg_lo:[1,1,0]
	v_add_nc_u32_e32 v2, s4, v14
	v_wmma_i32_16x16x16_iu8 v[4:11], v[84:85], v[20:21], v[4:11] neg_lo:[1,1,0]
	s_delay_alu instid0(VALU_DEP_2) | instskip(NEXT) | instid1(VALU_DEP_2)
	v_add_nc_u32_e32 v0, 64, v2
	v_wmma_i32_16x16x16_iu8 v[4:11], v[86:87], v[22:23], v[4:11] neg_lo:[1,1,0]
	s_wait_dscnt 0x0
	buffer_store_b64 v[12:13], v0, s[0:3], null offen
	s_wait_dscnt 0x0
	s_barrier_signal -1
	s_barrier_wait -1
	ds_store_b8 v93, v4
	ds_store_b8 v93, v5 offset:64
	ds_store_b8 v93, v6 offset:128
	;; [unrolled: 1-line block ×7, first 2 shown]
	s_wait_dscnt 0x0
	s_barrier_signal -1
	s_barrier_wait -1
	ds_load_b64 v[0:1], v92
	s_wait_dscnt 0x0
	buffer_store_b64 v[0:1], v2, s[0:3], null offen
	s_endpgm
	.section	.rodata,"a",@progbits
	.p2align	6, 0x0
	.amdhsa_kernel _ZN2ck27kernel_gemm_xdl_cshuffle_v1INS_43GridwiseGemm_k0mk1_k0nk1_mn_xdl_cshuffle_v1INS_13tensor_layout4gemm8RowMajorENS3_11ColumnMajorES4_aaiaaNS_16tensor_operation12element_wise11PassThroughES8_S8_LNS6_6device18GemmSpecializationE0ELNS_25InMemoryDataOperationEnumE0ELi1ELi256ELi256ELi128ELi64ELi16ELi16ELi16ELi16ELi8ELi2ENS_8SequenceIJLi4ELi64ELi1EEEENSC_IJLi1ELi0ELi2EEEESE_Li2ELi16ELi16ELb0ELi1ESD_SE_SE_Li2ELi8ELi8ELb0ELi1ELi1ELi1ENSC_IJLi1ELi32ELi1ELi8EEEELi4ELNS_13LoopSchedulerE0ELNS_15PipelineVersionE0EaaEELb0EEEvNT_8ArgumentE
		.amdhsa_group_segment_fixed_size 24672
		.amdhsa_private_segment_fixed_size 0
		.amdhsa_kernarg_size 96
		.amdhsa_user_sgpr_count 2
		.amdhsa_user_sgpr_dispatch_ptr 0
		.amdhsa_user_sgpr_queue_ptr 0
		.amdhsa_user_sgpr_kernarg_segment_ptr 1
		.amdhsa_user_sgpr_dispatch_id 0
		.amdhsa_user_sgpr_private_segment_size 0
		.amdhsa_wavefront_size32 1
		.amdhsa_uses_dynamic_stack 0
		.amdhsa_enable_private_segment 0
		.amdhsa_system_sgpr_workgroup_id_x 1
		.amdhsa_system_sgpr_workgroup_id_y 0
		.amdhsa_system_sgpr_workgroup_id_z 0
		.amdhsa_system_sgpr_workgroup_info 0
		.amdhsa_system_vgpr_workitem_id 0
		.amdhsa_next_free_vgpr 121
		.amdhsa_next_free_sgpr 28
		.amdhsa_reserve_vcc 0
		.amdhsa_float_round_mode_32 0
		.amdhsa_float_round_mode_16_64 0
		.amdhsa_float_denorm_mode_32 3
		.amdhsa_float_denorm_mode_16_64 3
		.amdhsa_fp16_overflow 0
		.amdhsa_workgroup_processor_mode 1
		.amdhsa_memory_ordered 1
		.amdhsa_forward_progress 1
		.amdhsa_inst_pref_size 30
		.amdhsa_round_robin_scheduling 0
		.amdhsa_exception_fp_ieee_invalid_op 0
		.amdhsa_exception_fp_denorm_src 0
		.amdhsa_exception_fp_ieee_div_zero 0
		.amdhsa_exception_fp_ieee_overflow 0
		.amdhsa_exception_fp_ieee_underflow 0
		.amdhsa_exception_fp_ieee_inexact 0
		.amdhsa_exception_int_div_zero 0
	.end_amdhsa_kernel
	.section	.text._ZN2ck27kernel_gemm_xdl_cshuffle_v1INS_43GridwiseGemm_k0mk1_k0nk1_mn_xdl_cshuffle_v1INS_13tensor_layout4gemm8RowMajorENS3_11ColumnMajorES4_aaiaaNS_16tensor_operation12element_wise11PassThroughES8_S8_LNS6_6device18GemmSpecializationE0ELNS_25InMemoryDataOperationEnumE0ELi1ELi256ELi256ELi128ELi64ELi16ELi16ELi16ELi16ELi8ELi2ENS_8SequenceIJLi4ELi64ELi1EEEENSC_IJLi1ELi0ELi2EEEESE_Li2ELi16ELi16ELb0ELi1ESD_SE_SE_Li2ELi8ELi8ELb0ELi1ELi1ELi1ENSC_IJLi1ELi32ELi1ELi8EEEELi4ELNS_13LoopSchedulerE0ELNS_15PipelineVersionE0EaaEELb0EEEvNT_8ArgumentE,"axG",@progbits,_ZN2ck27kernel_gemm_xdl_cshuffle_v1INS_43GridwiseGemm_k0mk1_k0nk1_mn_xdl_cshuffle_v1INS_13tensor_layout4gemm8RowMajorENS3_11ColumnMajorES4_aaiaaNS_16tensor_operation12element_wise11PassThroughES8_S8_LNS6_6device18GemmSpecializationE0ELNS_25InMemoryDataOperationEnumE0ELi1ELi256ELi256ELi128ELi64ELi16ELi16ELi16ELi16ELi8ELi2ENS_8SequenceIJLi4ELi64ELi1EEEENSC_IJLi1ELi0ELi2EEEESE_Li2ELi16ELi16ELb0ELi1ESD_SE_SE_Li2ELi8ELi8ELb0ELi1ELi1ELi1ENSC_IJLi1ELi32ELi1ELi8EEEELi4ELNS_13LoopSchedulerE0ELNS_15PipelineVersionE0EaaEELb0EEEvNT_8ArgumentE,comdat
.Lfunc_end4:
	.size	_ZN2ck27kernel_gemm_xdl_cshuffle_v1INS_43GridwiseGemm_k0mk1_k0nk1_mn_xdl_cshuffle_v1INS_13tensor_layout4gemm8RowMajorENS3_11ColumnMajorES4_aaiaaNS_16tensor_operation12element_wise11PassThroughES8_S8_LNS6_6device18GemmSpecializationE0ELNS_25InMemoryDataOperationEnumE0ELi1ELi256ELi256ELi128ELi64ELi16ELi16ELi16ELi16ELi8ELi2ENS_8SequenceIJLi4ELi64ELi1EEEENSC_IJLi1ELi0ELi2EEEESE_Li2ELi16ELi16ELb0ELi1ESD_SE_SE_Li2ELi8ELi8ELb0ELi1ELi1ELi1ENSC_IJLi1ELi32ELi1ELi8EEEELi4ELNS_13LoopSchedulerE0ELNS_15PipelineVersionE0EaaEELb0EEEvNT_8ArgumentE, .Lfunc_end4-_ZN2ck27kernel_gemm_xdl_cshuffle_v1INS_43GridwiseGemm_k0mk1_k0nk1_mn_xdl_cshuffle_v1INS_13tensor_layout4gemm8RowMajorENS3_11ColumnMajorES4_aaiaaNS_16tensor_operation12element_wise11PassThroughES8_S8_LNS6_6device18GemmSpecializationE0ELNS_25InMemoryDataOperationEnumE0ELi1ELi256ELi256ELi128ELi64ELi16ELi16ELi16ELi16ELi8ELi2ENS_8SequenceIJLi4ELi64ELi1EEEENSC_IJLi1ELi0ELi2EEEESE_Li2ELi16ELi16ELb0ELi1ESD_SE_SE_Li2ELi8ELi8ELb0ELi1ELi1ELi1ENSC_IJLi1ELi32ELi1ELi8EEEELi4ELNS_13LoopSchedulerE0ELNS_15PipelineVersionE0EaaEELb0EEEvNT_8ArgumentE
                                        ; -- End function
	.set _ZN2ck27kernel_gemm_xdl_cshuffle_v1INS_43GridwiseGemm_k0mk1_k0nk1_mn_xdl_cshuffle_v1INS_13tensor_layout4gemm8RowMajorENS3_11ColumnMajorES4_aaiaaNS_16tensor_operation12element_wise11PassThroughES8_S8_LNS6_6device18GemmSpecializationE0ELNS_25InMemoryDataOperationEnumE0ELi1ELi256ELi256ELi128ELi64ELi16ELi16ELi16ELi16ELi8ELi2ENS_8SequenceIJLi4ELi64ELi1EEEENSC_IJLi1ELi0ELi2EEEESE_Li2ELi16ELi16ELb0ELi1ESD_SE_SE_Li2ELi8ELi8ELb0ELi1ELi1ELi1ENSC_IJLi1ELi32ELi1ELi8EEEELi4ELNS_13LoopSchedulerE0ELNS_15PipelineVersionE0EaaEELb0EEEvNT_8ArgumentE.num_vgpr, 94
	.set _ZN2ck27kernel_gemm_xdl_cshuffle_v1INS_43GridwiseGemm_k0mk1_k0nk1_mn_xdl_cshuffle_v1INS_13tensor_layout4gemm8RowMajorENS3_11ColumnMajorES4_aaiaaNS_16tensor_operation12element_wise11PassThroughES8_S8_LNS6_6device18GemmSpecializationE0ELNS_25InMemoryDataOperationEnumE0ELi1ELi256ELi256ELi128ELi64ELi16ELi16ELi16ELi16ELi8ELi2ENS_8SequenceIJLi4ELi64ELi1EEEENSC_IJLi1ELi0ELi2EEEESE_Li2ELi16ELi16ELb0ELi1ESD_SE_SE_Li2ELi8ELi8ELb0ELi1ELi1ELi1ENSC_IJLi1ELi32ELi1ELi8EEEELi4ELNS_13LoopSchedulerE0ELNS_15PipelineVersionE0EaaEELb0EEEvNT_8ArgumentE.num_agpr, 0
	.set _ZN2ck27kernel_gemm_xdl_cshuffle_v1INS_43GridwiseGemm_k0mk1_k0nk1_mn_xdl_cshuffle_v1INS_13tensor_layout4gemm8RowMajorENS3_11ColumnMajorES4_aaiaaNS_16tensor_operation12element_wise11PassThroughES8_S8_LNS6_6device18GemmSpecializationE0ELNS_25InMemoryDataOperationEnumE0ELi1ELi256ELi256ELi128ELi64ELi16ELi16ELi16ELi16ELi8ELi2ENS_8SequenceIJLi4ELi64ELi1EEEENSC_IJLi1ELi0ELi2EEEESE_Li2ELi16ELi16ELb0ELi1ESD_SE_SE_Li2ELi8ELi8ELb0ELi1ELi1ELi1ENSC_IJLi1ELi32ELi1ELi8EEEELi4ELNS_13LoopSchedulerE0ELNS_15PipelineVersionE0EaaEELb0EEEvNT_8ArgumentE.numbered_sgpr, 28
	.set _ZN2ck27kernel_gemm_xdl_cshuffle_v1INS_43GridwiseGemm_k0mk1_k0nk1_mn_xdl_cshuffle_v1INS_13tensor_layout4gemm8RowMajorENS3_11ColumnMajorES4_aaiaaNS_16tensor_operation12element_wise11PassThroughES8_S8_LNS6_6device18GemmSpecializationE0ELNS_25InMemoryDataOperationEnumE0ELi1ELi256ELi256ELi128ELi64ELi16ELi16ELi16ELi16ELi8ELi2ENS_8SequenceIJLi4ELi64ELi1EEEENSC_IJLi1ELi0ELi2EEEESE_Li2ELi16ELi16ELb0ELi1ESD_SE_SE_Li2ELi8ELi8ELb0ELi1ELi1ELi1ENSC_IJLi1ELi32ELi1ELi8EEEELi4ELNS_13LoopSchedulerE0ELNS_15PipelineVersionE0EaaEELb0EEEvNT_8ArgumentE.num_named_barrier, 0
	.set _ZN2ck27kernel_gemm_xdl_cshuffle_v1INS_43GridwiseGemm_k0mk1_k0nk1_mn_xdl_cshuffle_v1INS_13tensor_layout4gemm8RowMajorENS3_11ColumnMajorES4_aaiaaNS_16tensor_operation12element_wise11PassThroughES8_S8_LNS6_6device18GemmSpecializationE0ELNS_25InMemoryDataOperationEnumE0ELi1ELi256ELi256ELi128ELi64ELi16ELi16ELi16ELi16ELi8ELi2ENS_8SequenceIJLi4ELi64ELi1EEEENSC_IJLi1ELi0ELi2EEEESE_Li2ELi16ELi16ELb0ELi1ESD_SE_SE_Li2ELi8ELi8ELb0ELi1ELi1ELi1ENSC_IJLi1ELi32ELi1ELi8EEEELi4ELNS_13LoopSchedulerE0ELNS_15PipelineVersionE0EaaEELb0EEEvNT_8ArgumentE.private_seg_size, 0
	.set _ZN2ck27kernel_gemm_xdl_cshuffle_v1INS_43GridwiseGemm_k0mk1_k0nk1_mn_xdl_cshuffle_v1INS_13tensor_layout4gemm8RowMajorENS3_11ColumnMajorES4_aaiaaNS_16tensor_operation12element_wise11PassThroughES8_S8_LNS6_6device18GemmSpecializationE0ELNS_25InMemoryDataOperationEnumE0ELi1ELi256ELi256ELi128ELi64ELi16ELi16ELi16ELi16ELi8ELi2ENS_8SequenceIJLi4ELi64ELi1EEEENSC_IJLi1ELi0ELi2EEEESE_Li2ELi16ELi16ELb0ELi1ESD_SE_SE_Li2ELi8ELi8ELb0ELi1ELi1ELi1ENSC_IJLi1ELi32ELi1ELi8EEEELi4ELNS_13LoopSchedulerE0ELNS_15PipelineVersionE0EaaEELb0EEEvNT_8ArgumentE.uses_vcc, 0
	.set _ZN2ck27kernel_gemm_xdl_cshuffle_v1INS_43GridwiseGemm_k0mk1_k0nk1_mn_xdl_cshuffle_v1INS_13tensor_layout4gemm8RowMajorENS3_11ColumnMajorES4_aaiaaNS_16tensor_operation12element_wise11PassThroughES8_S8_LNS6_6device18GemmSpecializationE0ELNS_25InMemoryDataOperationEnumE0ELi1ELi256ELi256ELi128ELi64ELi16ELi16ELi16ELi16ELi8ELi2ENS_8SequenceIJLi4ELi64ELi1EEEENSC_IJLi1ELi0ELi2EEEESE_Li2ELi16ELi16ELb0ELi1ESD_SE_SE_Li2ELi8ELi8ELb0ELi1ELi1ELi1ENSC_IJLi1ELi32ELi1ELi8EEEELi4ELNS_13LoopSchedulerE0ELNS_15PipelineVersionE0EaaEELb0EEEvNT_8ArgumentE.uses_flat_scratch, 0
	.set _ZN2ck27kernel_gemm_xdl_cshuffle_v1INS_43GridwiseGemm_k0mk1_k0nk1_mn_xdl_cshuffle_v1INS_13tensor_layout4gemm8RowMajorENS3_11ColumnMajorES4_aaiaaNS_16tensor_operation12element_wise11PassThroughES8_S8_LNS6_6device18GemmSpecializationE0ELNS_25InMemoryDataOperationEnumE0ELi1ELi256ELi256ELi128ELi64ELi16ELi16ELi16ELi16ELi8ELi2ENS_8SequenceIJLi4ELi64ELi1EEEENSC_IJLi1ELi0ELi2EEEESE_Li2ELi16ELi16ELb0ELi1ESD_SE_SE_Li2ELi8ELi8ELb0ELi1ELi1ELi1ENSC_IJLi1ELi32ELi1ELi8EEEELi4ELNS_13LoopSchedulerE0ELNS_15PipelineVersionE0EaaEELb0EEEvNT_8ArgumentE.has_dyn_sized_stack, 0
	.set _ZN2ck27kernel_gemm_xdl_cshuffle_v1INS_43GridwiseGemm_k0mk1_k0nk1_mn_xdl_cshuffle_v1INS_13tensor_layout4gemm8RowMajorENS3_11ColumnMajorES4_aaiaaNS_16tensor_operation12element_wise11PassThroughES8_S8_LNS6_6device18GemmSpecializationE0ELNS_25InMemoryDataOperationEnumE0ELi1ELi256ELi256ELi128ELi64ELi16ELi16ELi16ELi16ELi8ELi2ENS_8SequenceIJLi4ELi64ELi1EEEENSC_IJLi1ELi0ELi2EEEESE_Li2ELi16ELi16ELb0ELi1ESD_SE_SE_Li2ELi8ELi8ELb0ELi1ELi1ELi1ENSC_IJLi1ELi32ELi1ELi8EEEELi4ELNS_13LoopSchedulerE0ELNS_15PipelineVersionE0EaaEELb0EEEvNT_8ArgumentE.has_recursion, 0
	.set _ZN2ck27kernel_gemm_xdl_cshuffle_v1INS_43GridwiseGemm_k0mk1_k0nk1_mn_xdl_cshuffle_v1INS_13tensor_layout4gemm8RowMajorENS3_11ColumnMajorES4_aaiaaNS_16tensor_operation12element_wise11PassThroughES8_S8_LNS6_6device18GemmSpecializationE0ELNS_25InMemoryDataOperationEnumE0ELi1ELi256ELi256ELi128ELi64ELi16ELi16ELi16ELi16ELi8ELi2ENS_8SequenceIJLi4ELi64ELi1EEEENSC_IJLi1ELi0ELi2EEEESE_Li2ELi16ELi16ELb0ELi1ESD_SE_SE_Li2ELi8ELi8ELb0ELi1ELi1ELi1ENSC_IJLi1ELi32ELi1ELi8EEEELi4ELNS_13LoopSchedulerE0ELNS_15PipelineVersionE0EaaEELb0EEEvNT_8ArgumentE.has_indirect_call, 0
	.section	.AMDGPU.csdata,"",@progbits
; Kernel info:
; codeLenInByte = 3832
; TotalNumSgprs: 28
; NumVgprs: 94
; ScratchSize: 0
; MemoryBound: 0
; FloatMode: 240
; IeeeMode: 1
; LDSByteSize: 24672 bytes/workgroup (compile time only)
; SGPRBlocks: 0
; VGPRBlocks: 15
; NumSGPRsForWavesPerEU: 28
; NumVGPRsForWavesPerEU: 121
; Occupancy: 10
; WaveLimiterHint : 0
; COMPUTE_PGM_RSRC2:SCRATCH_EN: 0
; COMPUTE_PGM_RSRC2:USER_SGPR: 2
; COMPUTE_PGM_RSRC2:TRAP_HANDLER: 0
; COMPUTE_PGM_RSRC2:TGID_X_EN: 1
; COMPUTE_PGM_RSRC2:TGID_Y_EN: 0
; COMPUTE_PGM_RSRC2:TGID_Z_EN: 0
; COMPUTE_PGM_RSRC2:TIDIG_COMP_CNT: 0
	.section	.text._ZN2ck17naive_gemm_kernelINS_13tensor_layout4gemm8RowMajorENS2_11ColumnMajorES3_aaaiNS_16tensor_operation12element_wise11PassThroughES7_S7_aaEEvPKT2_PKT3_PT4_iiiT6_T7_T8_,"axG",@progbits,_ZN2ck17naive_gemm_kernelINS_13tensor_layout4gemm8RowMajorENS2_11ColumnMajorES3_aaaiNS_16tensor_operation12element_wise11PassThroughES7_S7_aaEEvPKT2_PKT3_PT4_iiiT6_T7_T8_,comdat
	.protected	_ZN2ck17naive_gemm_kernelINS_13tensor_layout4gemm8RowMajorENS2_11ColumnMajorES3_aaaiNS_16tensor_operation12element_wise11PassThroughES7_S7_aaEEvPKT2_PKT3_PT4_iiiT6_T7_T8_ ; -- Begin function _ZN2ck17naive_gemm_kernelINS_13tensor_layout4gemm8RowMajorENS2_11ColumnMajorES3_aaaiNS_16tensor_operation12element_wise11PassThroughES7_S7_aaEEvPKT2_PKT3_PT4_iiiT6_T7_T8_
	.globl	_ZN2ck17naive_gemm_kernelINS_13tensor_layout4gemm8RowMajorENS2_11ColumnMajorES3_aaaiNS_16tensor_operation12element_wise11PassThroughES7_S7_aaEEvPKT2_PKT3_PT4_iiiT6_T7_T8_
	.p2align	8
	.type	_ZN2ck17naive_gemm_kernelINS_13tensor_layout4gemm8RowMajorENS2_11ColumnMajorES3_aaaiNS_16tensor_operation12element_wise11PassThroughES7_S7_aaEEvPKT2_PKT3_PT4_iiiT6_T7_T8_,@function
_ZN2ck17naive_gemm_kernelINS_13tensor_layout4gemm8RowMajorENS2_11ColumnMajorES3_aaaiNS_16tensor_operation12element_wise11PassThroughES7_S7_aaEEvPKT2_PKT3_PT4_iiiT6_T7_T8_: ; @_ZN2ck17naive_gemm_kernelINS_13tensor_layout4gemm8RowMajorENS2_11ColumnMajorES3_aaaiNS_16tensor_operation12element_wise11PassThroughES7_S7_aaEEvPKT2_PKT3_PT4_iiiT6_T7_T8_
; %bb.0:
	s_clause 0x1
	s_load_b32 s2, s[0:1], 0x34
	s_load_b96 s[4:6], s[0:1], 0x18
	v_and_b32_e32 v1, 0x3ff, v0
	v_bfe_u32 v2, v0, 10, 10
	s_wait_kmcnt 0x0
	s_lshr_b32 s3, s2, 16
	s_and_b32 s2, s2, 0xffff
	s_delay_alu instid0(VALU_DEP_1) | instid1(SALU_CYCLE_1)
	v_mad_co_u64_u32 v[0:1], null, ttmp9, s2, v[1:2]
	v_mad_co_u64_u32 v[1:2], null, ttmp7, s3, v[2:3]
	s_delay_alu instid0(VALU_DEP_2) | instskip(NEXT) | instid1(VALU_DEP_2)
	v_cmp_gt_i32_e32 vcc_lo, s4, v0
	v_cmp_gt_i32_e64 s2, s5, v1
	s_and_b32 s2, vcc_lo, s2
	s_wait_alu 0xfffe
	s_and_saveexec_b32 s3, s2
	s_cbranch_execz .LBB5_6
; %bb.1:
	s_load_b64 s[2:3], s[0:1], 0x10
	s_cmp_lt_i32 s6, 1
	s_cbranch_scc1 .LBB5_4
; %bb.2:
	s_load_b128 s[8:11], s[0:1], 0x0
	v_mul_lo_u32 v2, v1, s6
	v_mul_lo_u32 v4, v0, s6
	v_mov_b32_e32 v6, 0
	s_delay_alu instid0(VALU_DEP_3) | instskip(NEXT) | instid1(VALU_DEP_3)
	v_ashrrev_i32_e32 v3, 31, v2
	v_ashrrev_i32_e32 v5, 31, v4
	s_wait_kmcnt 0x0
	v_add_co_u32 v2, vcc_lo, s10, v2
	s_delay_alu instid0(VALU_DEP_1)
	v_add_co_ci_u32_e64 v3, null, s11, v3, vcc_lo
	v_add_co_u32 v4, vcc_lo, s8, v4
	s_wait_alu 0xfffd
	v_add_co_ci_u32_e64 v5, null, s9, v5, vcc_lo
.LBB5_3:                                ; =>This Inner Loop Header: Depth=1
	global_load_u8 v7, v[4:5], off
	global_load_u8 v8, v[2:3], off
	v_add_co_u32 v2, vcc_lo, v2, 1
	s_wait_alu 0xfffd
	v_add_co_ci_u32_e64 v3, null, 0, v3, vcc_lo
	v_add_co_u32 v4, vcc_lo, v4, 1
	s_wait_alu 0xfffd
	v_add_co_ci_u32_e64 v5, null, 0, v5, vcc_lo
	s_add_co_i32 s6, s6, -1
	s_wait_alu 0xfffe
	s_cmp_eq_u32 s6, 0
	s_wait_loadcnt 0x0
	v_mad_u32_u24 v6, v8, v7, v6
	s_cbranch_scc0 .LBB5_3
	s_branch .LBB5_5
.LBB5_4:
	v_mov_b32_e32 v6, 0
.LBB5_5:
	v_mad_co_u64_u32 v[0:1], null, v0, s5, v[1:2]
	s_delay_alu instid0(VALU_DEP_1) | instskip(SKIP_3) | instid1(VALU_DEP_2)
	v_ashrrev_i32_e32 v1, 31, v0
	s_wait_kmcnt 0x0
	v_add_co_u32 v0, vcc_lo, s2, v0
	s_wait_alu 0xfffd
	v_add_co_ci_u32_e64 v1, null, s3, v1, vcc_lo
	global_store_b8 v[0:1], v6, off
.LBB5_6:
	s_endpgm
	.section	.rodata,"a",@progbits
	.p2align	6, 0x0
	.amdhsa_kernel _ZN2ck17naive_gemm_kernelINS_13tensor_layout4gemm8RowMajorENS2_11ColumnMajorES3_aaaiNS_16tensor_operation12element_wise11PassThroughES7_S7_aaEEvPKT2_PKT3_PT4_iiiT6_T7_T8_
		.amdhsa_group_segment_fixed_size 0
		.amdhsa_private_segment_fixed_size 0
		.amdhsa_kernarg_size 296
		.amdhsa_user_sgpr_count 2
		.amdhsa_user_sgpr_dispatch_ptr 0
		.amdhsa_user_sgpr_queue_ptr 0
		.amdhsa_user_sgpr_kernarg_segment_ptr 1
		.amdhsa_user_sgpr_dispatch_id 0
		.amdhsa_user_sgpr_private_segment_size 0
		.amdhsa_wavefront_size32 1
		.amdhsa_uses_dynamic_stack 0
		.amdhsa_enable_private_segment 0
		.amdhsa_system_sgpr_workgroup_id_x 1
		.amdhsa_system_sgpr_workgroup_id_y 1
		.amdhsa_system_sgpr_workgroup_id_z 0
		.amdhsa_system_sgpr_workgroup_info 0
		.amdhsa_system_vgpr_workitem_id 1
		.amdhsa_next_free_vgpr 9
		.amdhsa_next_free_sgpr 12
		.amdhsa_reserve_vcc 1
		.amdhsa_float_round_mode_32 0
		.amdhsa_float_round_mode_16_64 0
		.amdhsa_float_denorm_mode_32 3
		.amdhsa_float_denorm_mode_16_64 3
		.amdhsa_fp16_overflow 0
		.amdhsa_workgroup_processor_mode 1
		.amdhsa_memory_ordered 1
		.amdhsa_forward_progress 1
		.amdhsa_inst_pref_size 3
		.amdhsa_round_robin_scheduling 0
		.amdhsa_exception_fp_ieee_invalid_op 0
		.amdhsa_exception_fp_denorm_src 0
		.amdhsa_exception_fp_ieee_div_zero 0
		.amdhsa_exception_fp_ieee_overflow 0
		.amdhsa_exception_fp_ieee_underflow 0
		.amdhsa_exception_fp_ieee_inexact 0
		.amdhsa_exception_int_div_zero 0
	.end_amdhsa_kernel
	.section	.text._ZN2ck17naive_gemm_kernelINS_13tensor_layout4gemm8RowMajorENS2_11ColumnMajorES3_aaaiNS_16tensor_operation12element_wise11PassThroughES7_S7_aaEEvPKT2_PKT3_PT4_iiiT6_T7_T8_,"axG",@progbits,_ZN2ck17naive_gemm_kernelINS_13tensor_layout4gemm8RowMajorENS2_11ColumnMajorES3_aaaiNS_16tensor_operation12element_wise11PassThroughES7_S7_aaEEvPKT2_PKT3_PT4_iiiT6_T7_T8_,comdat
.Lfunc_end5:
	.size	_ZN2ck17naive_gemm_kernelINS_13tensor_layout4gemm8RowMajorENS2_11ColumnMajorES3_aaaiNS_16tensor_operation12element_wise11PassThroughES7_S7_aaEEvPKT2_PKT3_PT4_iiiT6_T7_T8_, .Lfunc_end5-_ZN2ck17naive_gemm_kernelINS_13tensor_layout4gemm8RowMajorENS2_11ColumnMajorES3_aaaiNS_16tensor_operation12element_wise11PassThroughES7_S7_aaEEvPKT2_PKT3_PT4_iiiT6_T7_T8_
                                        ; -- End function
	.set _ZN2ck17naive_gemm_kernelINS_13tensor_layout4gemm8RowMajorENS2_11ColumnMajorES3_aaaiNS_16tensor_operation12element_wise11PassThroughES7_S7_aaEEvPKT2_PKT3_PT4_iiiT6_T7_T8_.num_vgpr, 9
	.set _ZN2ck17naive_gemm_kernelINS_13tensor_layout4gemm8RowMajorENS2_11ColumnMajorES3_aaaiNS_16tensor_operation12element_wise11PassThroughES7_S7_aaEEvPKT2_PKT3_PT4_iiiT6_T7_T8_.num_agpr, 0
	.set _ZN2ck17naive_gemm_kernelINS_13tensor_layout4gemm8RowMajorENS2_11ColumnMajorES3_aaaiNS_16tensor_operation12element_wise11PassThroughES7_S7_aaEEvPKT2_PKT3_PT4_iiiT6_T7_T8_.numbered_sgpr, 12
	.set _ZN2ck17naive_gemm_kernelINS_13tensor_layout4gemm8RowMajorENS2_11ColumnMajorES3_aaaiNS_16tensor_operation12element_wise11PassThroughES7_S7_aaEEvPKT2_PKT3_PT4_iiiT6_T7_T8_.num_named_barrier, 0
	.set _ZN2ck17naive_gemm_kernelINS_13tensor_layout4gemm8RowMajorENS2_11ColumnMajorES3_aaaiNS_16tensor_operation12element_wise11PassThroughES7_S7_aaEEvPKT2_PKT3_PT4_iiiT6_T7_T8_.private_seg_size, 0
	.set _ZN2ck17naive_gemm_kernelINS_13tensor_layout4gemm8RowMajorENS2_11ColumnMajorES3_aaaiNS_16tensor_operation12element_wise11PassThroughES7_S7_aaEEvPKT2_PKT3_PT4_iiiT6_T7_T8_.uses_vcc, 1
	.set _ZN2ck17naive_gemm_kernelINS_13tensor_layout4gemm8RowMajorENS2_11ColumnMajorES3_aaaiNS_16tensor_operation12element_wise11PassThroughES7_S7_aaEEvPKT2_PKT3_PT4_iiiT6_T7_T8_.uses_flat_scratch, 0
	.set _ZN2ck17naive_gemm_kernelINS_13tensor_layout4gemm8RowMajorENS2_11ColumnMajorES3_aaaiNS_16tensor_operation12element_wise11PassThroughES7_S7_aaEEvPKT2_PKT3_PT4_iiiT6_T7_T8_.has_dyn_sized_stack, 0
	.set _ZN2ck17naive_gemm_kernelINS_13tensor_layout4gemm8RowMajorENS2_11ColumnMajorES3_aaaiNS_16tensor_operation12element_wise11PassThroughES7_S7_aaEEvPKT2_PKT3_PT4_iiiT6_T7_T8_.has_recursion, 0
	.set _ZN2ck17naive_gemm_kernelINS_13tensor_layout4gemm8RowMajorENS2_11ColumnMajorES3_aaaiNS_16tensor_operation12element_wise11PassThroughES7_S7_aaEEvPKT2_PKT3_PT4_iiiT6_T7_T8_.has_indirect_call, 0
	.section	.AMDGPU.csdata,"",@progbits
; Kernel info:
; codeLenInByte = 360
; TotalNumSgprs: 14
; NumVgprs: 9
; ScratchSize: 0
; MemoryBound: 0
; FloatMode: 240
; IeeeMode: 1
; LDSByteSize: 0 bytes/workgroup (compile time only)
; SGPRBlocks: 0
; VGPRBlocks: 1
; NumSGPRsForWavesPerEU: 14
; NumVGPRsForWavesPerEU: 9
; Occupancy: 16
; WaveLimiterHint : 0
; COMPUTE_PGM_RSRC2:SCRATCH_EN: 0
; COMPUTE_PGM_RSRC2:USER_SGPR: 2
; COMPUTE_PGM_RSRC2:TRAP_HANDLER: 0
; COMPUTE_PGM_RSRC2:TGID_X_EN: 1
; COMPUTE_PGM_RSRC2:TGID_Y_EN: 1
; COMPUTE_PGM_RSRC2:TGID_Z_EN: 0
; COMPUTE_PGM_RSRC2:TIDIG_COMP_CNT: 1
	.section	.AMDGPU.gpr_maximums,"",@progbits
	.set amdgpu.max_num_vgpr, 0
	.set amdgpu.max_num_agpr, 0
	.set amdgpu.max_num_sgpr, 0
	.section	.AMDGPU.csdata,"",@progbits
	.type	__hip_cuid_d3b9741e896c4760,@object ; @__hip_cuid_d3b9741e896c4760
	.section	.bss,"aw",@nobits
	.globl	__hip_cuid_d3b9741e896c4760
__hip_cuid_d3b9741e896c4760:
	.byte	0                               ; 0x0
	.size	__hip_cuid_d3b9741e896c4760, 1

	.ident	"AMD clang version 22.0.0git (https://github.com/RadeonOpenCompute/llvm-project roc-7.2.4 26084 f58b06dce1f9c15707c5f808fd002e18c2accf7e)"
	.section	".note.GNU-stack","",@progbits
	.addrsig
	.addrsig_sym __hip_cuid_d3b9741e896c4760
	.amdgpu_metadata
---
amdhsa.kernels:
  - .args:           []
    .group_segment_fixed_size: 0
    .kernarg_segment_align: 4
    .kernarg_segment_size: 0
    .language:       OpenCL C
    .language_version:
      - 2
      - 0
    .max_flat_workgroup_size: 1024
    .name:           _ZN2ckL12flush_icacheEv
    .private_segment_fixed_size: 0
    .sgpr_count:     0
    .sgpr_spill_count: 0
    .symbol:         _ZN2ckL12flush_icacheEv.kd
    .uniform_work_group_size: 1
    .uses_dynamic_stack: false
    .vgpr_count:     0
    .vgpr_spill_count: 0
    .wavefront_size: 32
    .workgroup_processor_mode: 1
  - .args:
      - .offset:         0
        .size:           96
        .value_kind:     by_value
    .group_segment_fixed_size: 0
    .kernarg_segment_align: 8
    .kernarg_segment_size: 96
    .language:       OpenCL C
    .language_version:
      - 2
      - 0
    .max_flat_workgroup_size: 256
    .name:           _ZN2ck27kernel_gemm_xdl_cshuffle_v1INS_43GridwiseGemm_k0mk1_k0nk1_mn_xdl_cshuffle_v1INS_13tensor_layout4gemm8RowMajorENS3_11ColumnMajorES4_aaiaaNS_16tensor_operation12element_wise11PassThroughES8_S8_LNS6_6device18GemmSpecializationE0ELNS_25InMemoryDataOperationEnumE0ELi1ELi256ELi256ELi128ELi64ELi16ELi16ELi16ELi16ELi8ELi4ENS_8SequenceIJLi4ELi64ELi1EEEENSC_IJLi1ELi0ELi2EEEESE_Li2ELi16ELi16ELb0ELi1ESD_SE_SE_Li2ELi8ELi8ELb0ELi1ELi1ELi1ENSC_IJLi1ELi32ELi1ELi8EEEELi4ELNS_13LoopSchedulerE0ELNS_15PipelineVersionE0EaaEELb1EEEvNT_8ArgumentE
    .private_segment_fixed_size: 0
    .sgpr_count:     0
    .sgpr_spill_count: 0
    .symbol:         _ZN2ck27kernel_gemm_xdl_cshuffle_v1INS_43GridwiseGemm_k0mk1_k0nk1_mn_xdl_cshuffle_v1INS_13tensor_layout4gemm8RowMajorENS3_11ColumnMajorES4_aaiaaNS_16tensor_operation12element_wise11PassThroughES8_S8_LNS6_6device18GemmSpecializationE0ELNS_25InMemoryDataOperationEnumE0ELi1ELi256ELi256ELi128ELi64ELi16ELi16ELi16ELi16ELi8ELi4ENS_8SequenceIJLi4ELi64ELi1EEEENSC_IJLi1ELi0ELi2EEEESE_Li2ELi16ELi16ELb0ELi1ESD_SE_SE_Li2ELi8ELi8ELb0ELi1ELi1ELi1ENSC_IJLi1ELi32ELi1ELi8EEEELi4ELNS_13LoopSchedulerE0ELNS_15PipelineVersionE0EaaEELb1EEEvNT_8ArgumentE.kd
    .uniform_work_group_size: 1
    .uses_dynamic_stack: false
    .vgpr_count:     0
    .vgpr_spill_count: 0
    .wavefront_size: 32
    .workgroup_processor_mode: 1
  - .args:
      - .offset:         0
        .size:           96
        .value_kind:     by_value
    .group_segment_fixed_size: 0
    .kernarg_segment_align: 8
    .kernarg_segment_size: 96
    .language:       OpenCL C
    .language_version:
      - 2
      - 0
    .max_flat_workgroup_size: 256
    .name:           _ZN2ck27kernel_gemm_xdl_cshuffle_v1INS_43GridwiseGemm_k0mk1_k0nk1_mn_xdl_cshuffle_v1INS_13tensor_layout4gemm8RowMajorENS3_11ColumnMajorES4_aaiaaNS_16tensor_operation12element_wise11PassThroughES8_S8_LNS6_6device18GemmSpecializationE0ELNS_25InMemoryDataOperationEnumE0ELi1ELi256ELi256ELi128ELi64ELi16ELi16ELi16ELi16ELi8ELi4ENS_8SequenceIJLi4ELi64ELi1EEEENSC_IJLi1ELi0ELi2EEEESE_Li2ELi16ELi16ELb0ELi1ESD_SE_SE_Li2ELi8ELi8ELb0ELi1ELi1ELi1ENSC_IJLi1ELi32ELi1ELi8EEEELi4ELNS_13LoopSchedulerE0ELNS_15PipelineVersionE0EaaEELb0EEEvNT_8ArgumentE
    .private_segment_fixed_size: 0
    .sgpr_count:     0
    .sgpr_spill_count: 0
    .symbol:         _ZN2ck27kernel_gemm_xdl_cshuffle_v1INS_43GridwiseGemm_k0mk1_k0nk1_mn_xdl_cshuffle_v1INS_13tensor_layout4gemm8RowMajorENS3_11ColumnMajorES4_aaiaaNS_16tensor_operation12element_wise11PassThroughES8_S8_LNS6_6device18GemmSpecializationE0ELNS_25InMemoryDataOperationEnumE0ELi1ELi256ELi256ELi128ELi64ELi16ELi16ELi16ELi16ELi8ELi4ENS_8SequenceIJLi4ELi64ELi1EEEENSC_IJLi1ELi0ELi2EEEESE_Li2ELi16ELi16ELb0ELi1ESD_SE_SE_Li2ELi8ELi8ELb0ELi1ELi1ELi1ENSC_IJLi1ELi32ELi1ELi8EEEELi4ELNS_13LoopSchedulerE0ELNS_15PipelineVersionE0EaaEELb0EEEvNT_8ArgumentE.kd
    .uniform_work_group_size: 1
    .uses_dynamic_stack: false
    .vgpr_count:     0
    .vgpr_spill_count: 0
    .wavefront_size: 32
    .workgroup_processor_mode: 1
  - .args:
      - .offset:         0
        .size:           96
        .value_kind:     by_value
    .group_segment_fixed_size: 24672
    .kernarg_segment_align: 8
    .kernarg_segment_size: 96
    .language:       OpenCL C
    .language_version:
      - 2
      - 0
    .max_flat_workgroup_size: 256
    .name:           _ZN2ck27kernel_gemm_xdl_cshuffle_v1INS_43GridwiseGemm_k0mk1_k0nk1_mn_xdl_cshuffle_v1INS_13tensor_layout4gemm8RowMajorENS3_11ColumnMajorES4_aaiaaNS_16tensor_operation12element_wise11PassThroughES8_S8_LNS6_6device18GemmSpecializationE0ELNS_25InMemoryDataOperationEnumE0ELi1ELi256ELi256ELi128ELi64ELi16ELi16ELi16ELi16ELi8ELi2ENS_8SequenceIJLi4ELi64ELi1EEEENSC_IJLi1ELi0ELi2EEEESE_Li2ELi16ELi16ELb0ELi1ESD_SE_SE_Li2ELi8ELi8ELb0ELi1ELi1ELi1ENSC_IJLi1ELi32ELi1ELi8EEEELi4ELNS_13LoopSchedulerE0ELNS_15PipelineVersionE0EaaEELb1EEEvNT_8ArgumentE
    .private_segment_fixed_size: 0
    .sgpr_count:     36
    .sgpr_spill_count: 0
    .symbol:         _ZN2ck27kernel_gemm_xdl_cshuffle_v1INS_43GridwiseGemm_k0mk1_k0nk1_mn_xdl_cshuffle_v1INS_13tensor_layout4gemm8RowMajorENS3_11ColumnMajorES4_aaiaaNS_16tensor_operation12element_wise11PassThroughES8_S8_LNS6_6device18GemmSpecializationE0ELNS_25InMemoryDataOperationEnumE0ELi1ELi256ELi256ELi128ELi64ELi16ELi16ELi16ELi16ELi8ELi2ENS_8SequenceIJLi4ELi64ELi1EEEENSC_IJLi1ELi0ELi2EEEESE_Li2ELi16ELi16ELb0ELi1ESD_SE_SE_Li2ELi8ELi8ELb0ELi1ELi1ELi1ENSC_IJLi1ELi32ELi1ELi8EEEELi4ELNS_13LoopSchedulerE0ELNS_15PipelineVersionE0EaaEELb1EEEvNT_8ArgumentE.kd
    .uniform_work_group_size: 1
    .uses_dynamic_stack: false
    .vgpr_count:     187
    .vgpr_spill_count: 0
    .wavefront_size: 32
    .workgroup_processor_mode: 1
  - .args:
      - .offset:         0
        .size:           96
        .value_kind:     by_value
    .group_segment_fixed_size: 24672
    .kernarg_segment_align: 8
    .kernarg_segment_size: 96
    .language:       OpenCL C
    .language_version:
      - 2
      - 0
    .max_flat_workgroup_size: 256
    .name:           _ZN2ck27kernel_gemm_xdl_cshuffle_v1INS_43GridwiseGemm_k0mk1_k0nk1_mn_xdl_cshuffle_v1INS_13tensor_layout4gemm8RowMajorENS3_11ColumnMajorES4_aaiaaNS_16tensor_operation12element_wise11PassThroughES8_S8_LNS6_6device18GemmSpecializationE0ELNS_25InMemoryDataOperationEnumE0ELi1ELi256ELi256ELi128ELi64ELi16ELi16ELi16ELi16ELi8ELi2ENS_8SequenceIJLi4ELi64ELi1EEEENSC_IJLi1ELi0ELi2EEEESE_Li2ELi16ELi16ELb0ELi1ESD_SE_SE_Li2ELi8ELi8ELb0ELi1ELi1ELi1ENSC_IJLi1ELi32ELi1ELi8EEEELi4ELNS_13LoopSchedulerE0ELNS_15PipelineVersionE0EaaEELb0EEEvNT_8ArgumentE
    .private_segment_fixed_size: 0
    .sgpr_count:     28
    .sgpr_spill_count: 0
    .symbol:         _ZN2ck27kernel_gemm_xdl_cshuffle_v1INS_43GridwiseGemm_k0mk1_k0nk1_mn_xdl_cshuffle_v1INS_13tensor_layout4gemm8RowMajorENS3_11ColumnMajorES4_aaiaaNS_16tensor_operation12element_wise11PassThroughES8_S8_LNS6_6device18GemmSpecializationE0ELNS_25InMemoryDataOperationEnumE0ELi1ELi256ELi256ELi128ELi64ELi16ELi16ELi16ELi16ELi8ELi2ENS_8SequenceIJLi4ELi64ELi1EEEENSC_IJLi1ELi0ELi2EEEESE_Li2ELi16ELi16ELb0ELi1ESD_SE_SE_Li2ELi8ELi8ELb0ELi1ELi1ELi1ENSC_IJLi1ELi32ELi1ELi8EEEELi4ELNS_13LoopSchedulerE0ELNS_15PipelineVersionE0EaaEELb0EEEvNT_8ArgumentE.kd
    .uniform_work_group_size: 1
    .uses_dynamic_stack: false
    .vgpr_count:     94
    .vgpr_spill_count: 0
    .wavefront_size: 32
    .workgroup_processor_mode: 1
  - .args:
      - .actual_access:  read_only
        .address_space:  global
        .offset:         0
        .size:           8
        .value_kind:     global_buffer
      - .actual_access:  read_only
        .address_space:  global
        .offset:         8
        .size:           8
        .value_kind:     global_buffer
      - .actual_access:  write_only
        .address_space:  global
        .offset:         16
        .size:           8
        .value_kind:     global_buffer
      - .offset:         24
        .size:           4
        .value_kind:     by_value
      - .offset:         28
        .size:           4
        .value_kind:     by_value
      - .offset:         32
        .size:           4
        .value_kind:     by_value
      - .offset:         36
        .size:           1
        .value_kind:     by_value
      - .offset:         37
        .size:           1
        .value_kind:     by_value
      - .offset:         38
        .size:           1
        .value_kind:     by_value
      - .offset:         40
        .size:           4
        .value_kind:     hidden_block_count_x
      - .offset:         44
        .size:           4
        .value_kind:     hidden_block_count_y
      - .offset:         48
        .size:           4
        .value_kind:     hidden_block_count_z
      - .offset:         52
        .size:           2
        .value_kind:     hidden_group_size_x
      - .offset:         54
        .size:           2
        .value_kind:     hidden_group_size_y
      - .offset:         56
        .size:           2
        .value_kind:     hidden_group_size_z
      - .offset:         58
        .size:           2
        .value_kind:     hidden_remainder_x
      - .offset:         60
        .size:           2
        .value_kind:     hidden_remainder_y
      - .offset:         62
        .size:           2
        .value_kind:     hidden_remainder_z
      - .offset:         80
        .size:           8
        .value_kind:     hidden_global_offset_x
      - .offset:         88
        .size:           8
        .value_kind:     hidden_global_offset_y
      - .offset:         96
        .size:           8
        .value_kind:     hidden_global_offset_z
      - .offset:         104
        .size:           2
        .value_kind:     hidden_grid_dims
    .group_segment_fixed_size: 0
    .kernarg_segment_align: 8
    .kernarg_segment_size: 296
    .language:       OpenCL C
    .language_version:
      - 2
      - 0
    .max_flat_workgroup_size: 256
    .name:           _ZN2ck17naive_gemm_kernelINS_13tensor_layout4gemm8RowMajorENS2_11ColumnMajorES3_aaaiNS_16tensor_operation12element_wise11PassThroughES7_S7_aaEEvPKT2_PKT3_PT4_iiiT6_T7_T8_
    .private_segment_fixed_size: 0
    .sgpr_count:     14
    .sgpr_spill_count: 0
    .symbol:         _ZN2ck17naive_gemm_kernelINS_13tensor_layout4gemm8RowMajorENS2_11ColumnMajorES3_aaaiNS_16tensor_operation12element_wise11PassThroughES7_S7_aaEEvPKT2_PKT3_PT4_iiiT6_T7_T8_.kd
    .uniform_work_group_size: 1
    .uses_dynamic_stack: false
    .vgpr_count:     9
    .vgpr_spill_count: 0
    .wavefront_size: 32
    .workgroup_processor_mode: 1
amdhsa.target:   amdgcn-amd-amdhsa--gfx1201
amdhsa.version:
  - 1
  - 2
...

	.end_amdgpu_metadata
